;; amdgpu-corpus repo=ROCm/rocSOLVER kind=compiled arch=gfx1250 opt=O3
	.amdgcn_target "amdgcn-amd-amdhsa--gfx1250"
	.amdhsa_code_object_version 6
	.section	.text._ZN9rocsolver6v33100L10reset_infoIiiiEEvPT_T0_T1_S4_,"axG",@progbits,_ZN9rocsolver6v33100L10reset_infoIiiiEEvPT_T0_T1_S4_,comdat
	.globl	_ZN9rocsolver6v33100L10reset_infoIiiiEEvPT_T0_T1_S4_ ; -- Begin function _ZN9rocsolver6v33100L10reset_infoIiiiEEvPT_T0_T1_S4_
	.p2align	8
	.type	_ZN9rocsolver6v33100L10reset_infoIiiiEEvPT_T0_T1_S4_,@function
_ZN9rocsolver6v33100L10reset_infoIiiiEEvPT_T0_T1_S4_: ; @_ZN9rocsolver6v33100L10reset_infoIiiiEEvPT_T0_T1_S4_
; %bb.0:
	s_clause 0x1
	s_load_b32 s2, s[0:1], 0x24
	s_load_b96 s[4:6], s[0:1], 0x8
	s_bfe_u32 s3, ttmp6, 0x4000c
	s_and_b32 s7, ttmp6, 15
	s_add_co_i32 s3, s3, 1
	s_getreg_b32 s8, hwreg(HW_REG_IB_STS2, 6, 4)
	s_mul_i32 s3, ttmp9, s3
	s_delay_alu instid0(SALU_CYCLE_1) | instskip(SKIP_4) | instid1(SALU_CYCLE_1)
	s_add_co_i32 s7, s7, s3
	s_wait_kmcnt 0x0
	s_and_b32 s2, s2, 0xffff
	s_cmp_eq_u32 s8, 0
	s_cselect_b32 s3, ttmp9, s7
	v_mad_u32 v0, s3, s2, v0
	s_mov_b32 s2, exec_lo
	s_delay_alu instid0(VALU_DEP_1)
	v_cmpx_gt_i32_e64 s4, v0
	s_cbranch_execz .LBB0_2
; %bb.1:
	s_load_b64 s[0:1], s[0:1], 0x0
	v_mad_u32 v1, v0, s6, s5
	s_wait_kmcnt 0x0
	global_store_b32 v0, v1, s[0:1] scale_offset
.LBB0_2:
	s_endpgm
	.section	.rodata,"a",@progbits
	.p2align	6, 0x0
	.amdhsa_kernel _ZN9rocsolver6v33100L10reset_infoIiiiEEvPT_T0_T1_S4_
		.amdhsa_group_segment_fixed_size 0
		.amdhsa_private_segment_fixed_size 0
		.amdhsa_kernarg_size 280
		.amdhsa_user_sgpr_count 2
		.amdhsa_user_sgpr_dispatch_ptr 0
		.amdhsa_user_sgpr_queue_ptr 0
		.amdhsa_user_sgpr_kernarg_segment_ptr 1
		.amdhsa_user_sgpr_dispatch_id 0
		.amdhsa_user_sgpr_kernarg_preload_length 0
		.amdhsa_user_sgpr_kernarg_preload_offset 0
		.amdhsa_user_sgpr_private_segment_size 0
		.amdhsa_wavefront_size32 1
		.amdhsa_uses_dynamic_stack 0
		.amdhsa_enable_private_segment 0
		.amdhsa_system_sgpr_workgroup_id_x 1
		.amdhsa_system_sgpr_workgroup_id_y 0
		.amdhsa_system_sgpr_workgroup_id_z 0
		.amdhsa_system_sgpr_workgroup_info 0
		.amdhsa_system_vgpr_workitem_id 0
		.amdhsa_next_free_vgpr 2
		.amdhsa_next_free_sgpr 9
		.amdhsa_named_barrier_count 0
		.amdhsa_reserve_vcc 0
		.amdhsa_float_round_mode_32 0
		.amdhsa_float_round_mode_16_64 0
		.amdhsa_float_denorm_mode_32 3
		.amdhsa_float_denorm_mode_16_64 3
		.amdhsa_fp16_overflow 0
		.amdhsa_memory_ordered 1
		.amdhsa_forward_progress 1
		.amdhsa_inst_pref_size 2
		.amdhsa_round_robin_scheduling 0
		.amdhsa_exception_fp_ieee_invalid_op 0
		.amdhsa_exception_fp_denorm_src 0
		.amdhsa_exception_fp_ieee_div_zero 0
		.amdhsa_exception_fp_ieee_overflow 0
		.amdhsa_exception_fp_ieee_underflow 0
		.amdhsa_exception_fp_ieee_inexact 0
		.amdhsa_exception_int_div_zero 0
	.end_amdhsa_kernel
	.section	.text._ZN9rocsolver6v33100L10reset_infoIiiiEEvPT_T0_T1_S4_,"axG",@progbits,_ZN9rocsolver6v33100L10reset_infoIiiiEEvPT_T0_T1_S4_,comdat
.Lfunc_end0:
	.size	_ZN9rocsolver6v33100L10reset_infoIiiiEEvPT_T0_T1_S4_, .Lfunc_end0-_ZN9rocsolver6v33100L10reset_infoIiiiEEvPT_T0_T1_S4_
                                        ; -- End function
	.set _ZN9rocsolver6v33100L10reset_infoIiiiEEvPT_T0_T1_S4_.num_vgpr, 2
	.set _ZN9rocsolver6v33100L10reset_infoIiiiEEvPT_T0_T1_S4_.num_agpr, 0
	.set _ZN9rocsolver6v33100L10reset_infoIiiiEEvPT_T0_T1_S4_.numbered_sgpr, 9
	.set _ZN9rocsolver6v33100L10reset_infoIiiiEEvPT_T0_T1_S4_.num_named_barrier, 0
	.set _ZN9rocsolver6v33100L10reset_infoIiiiEEvPT_T0_T1_S4_.private_seg_size, 0
	.set _ZN9rocsolver6v33100L10reset_infoIiiiEEvPT_T0_T1_S4_.uses_vcc, 0
	.set _ZN9rocsolver6v33100L10reset_infoIiiiEEvPT_T0_T1_S4_.uses_flat_scratch, 0
	.set _ZN9rocsolver6v33100L10reset_infoIiiiEEvPT_T0_T1_S4_.has_dyn_sized_stack, 0
	.set _ZN9rocsolver6v33100L10reset_infoIiiiEEvPT_T0_T1_S4_.has_recursion, 0
	.set _ZN9rocsolver6v33100L10reset_infoIiiiEEvPT_T0_T1_S4_.has_indirect_call, 0
	.section	.AMDGPU.csdata,"",@progbits
; Kernel info:
; codeLenInByte = 136
; TotalNumSgprs: 9
; NumVgprs: 2
; ScratchSize: 0
; MemoryBound: 0
; FloatMode: 240
; IeeeMode: 1
; LDSByteSize: 0 bytes/workgroup (compile time only)
; SGPRBlocks: 0
; VGPRBlocks: 0
; NumSGPRsForWavesPerEU: 9
; NumVGPRsForWavesPerEU: 2
; NamedBarCnt: 0
; Occupancy: 16
; WaveLimiterHint : 0
; COMPUTE_PGM_RSRC2:SCRATCH_EN: 0
; COMPUTE_PGM_RSRC2:USER_SGPR: 2
; COMPUTE_PGM_RSRC2:TRAP_HANDLER: 0
; COMPUTE_PGM_RSRC2:TGID_X_EN: 1
; COMPUTE_PGM_RSRC2:TGID_Y_EN: 0
; COMPUTE_PGM_RSRC2:TGID_Z_EN: 0
; COMPUTE_PGM_RSRC2:TIDIG_COMP_CNT: 0
	.section	.text._ZN9rocsolver6v33100L16reset_batch_infoIfiiPfEEvT2_lT0_T1_,"axG",@progbits,_ZN9rocsolver6v33100L16reset_batch_infoIfiiPfEEvT2_lT0_T1_,comdat
	.globl	_ZN9rocsolver6v33100L16reset_batch_infoIfiiPfEEvT2_lT0_T1_ ; -- Begin function _ZN9rocsolver6v33100L16reset_batch_infoIfiiPfEEvT2_lT0_T1_
	.p2align	8
	.type	_ZN9rocsolver6v33100L16reset_batch_infoIfiiPfEEvT2_lT0_T1_,@function
_ZN9rocsolver6v33100L16reset_batch_infoIfiiPfEEvT2_lT0_T1_: ; @_ZN9rocsolver6v33100L16reset_batch_infoIfiiPfEEvT2_lT0_T1_
; %bb.0:
	s_clause 0x1
	s_load_b32 s5, s[0:1], 0x24
	s_load_b64 s[2:3], s[0:1], 0x10
	s_bfe_u32 s4, ttmp6, 0x4000c
	s_and_b32 s6, ttmp6, 15
	s_add_co_i32 s7, s4, 1
	s_getreg_b32 s4, hwreg(HW_REG_IB_STS2, 6, 4)
	s_mul_i32 s7, ttmp9, s7
	s_delay_alu instid0(SALU_CYCLE_1) | instskip(SKIP_4) | instid1(SALU_CYCLE_1)
	s_add_co_i32 s6, s6, s7
	s_wait_kmcnt 0x0
	s_and_b32 s5, s5, 0xffff
	s_cmp_eq_u32 s4, 0
	s_cselect_b32 s6, ttmp9, s6
	v_mad_u32 v0, s6, s5, v0
	s_delay_alu instid0(VALU_DEP_1)
	v_cmp_gt_i32_e32 vcc_lo, s2, v0
	s_and_saveexec_b32 s2, vcc_lo
	s_cbranch_execz .LBB1_2
; %bb.1:
	s_load_b128 s[8:11], s[0:1], 0x0
	s_wait_xcnt 0x0
	s_bfe_u32 s0, ttmp6, 0x40010
	s_bfe_u32 s1, ttmp6, 0x40004
	s_add_co_i32 s0, s0, 1
	s_cvt_f32_i32 s2, s3
	s_mul_i32 s0, ttmp7, s0
	s_delay_alu instid0(SALU_CYCLE_1) | instskip(SKIP_3) | instid1(SALU_CYCLE_1)
	s_add_co_i32 s1, s1, s0
	s_cmp_eq_u32 s4, 0
	v_mov_b32_e32 v1, s2
	s_cselect_b32 s0, ttmp7, s1
	s_ashr_i32 s1, s0, 31
	s_wait_kmcnt 0x0
	s_mul_u64 s[0:1], s[10:11], s[0:1]
	s_delay_alu instid0(SALU_CYCLE_1) | instskip(NEXT) | instid1(SALU_CYCLE_1)
	s_lshl_b64 s[0:1], s[0:1], 2
	s_add_nc_u64 s[0:1], s[8:9], s[0:1]
	global_store_b32 v0, v1, s[0:1] scale_offset
.LBB1_2:
	s_endpgm
	.section	.rodata,"a",@progbits
	.p2align	6, 0x0
	.amdhsa_kernel _ZN9rocsolver6v33100L16reset_batch_infoIfiiPfEEvT2_lT0_T1_
		.amdhsa_group_segment_fixed_size 0
		.amdhsa_private_segment_fixed_size 0
		.amdhsa_kernarg_size 280
		.amdhsa_user_sgpr_count 2
		.amdhsa_user_sgpr_dispatch_ptr 0
		.amdhsa_user_sgpr_queue_ptr 0
		.amdhsa_user_sgpr_kernarg_segment_ptr 1
		.amdhsa_user_sgpr_dispatch_id 0
		.amdhsa_user_sgpr_kernarg_preload_length 0
		.amdhsa_user_sgpr_kernarg_preload_offset 0
		.amdhsa_user_sgpr_private_segment_size 0
		.amdhsa_wavefront_size32 1
		.amdhsa_uses_dynamic_stack 0
		.amdhsa_enable_private_segment 0
		.amdhsa_system_sgpr_workgroup_id_x 1
		.amdhsa_system_sgpr_workgroup_id_y 1
		.amdhsa_system_sgpr_workgroup_id_z 0
		.amdhsa_system_sgpr_workgroup_info 0
		.amdhsa_system_vgpr_workitem_id 0
		.amdhsa_next_free_vgpr 2
		.amdhsa_next_free_sgpr 12
		.amdhsa_named_barrier_count 0
		.amdhsa_reserve_vcc 1
		.amdhsa_float_round_mode_32 0
		.amdhsa_float_round_mode_16_64 0
		.amdhsa_float_denorm_mode_32 3
		.amdhsa_float_denorm_mode_16_64 3
		.amdhsa_fp16_overflow 0
		.amdhsa_memory_ordered 1
		.amdhsa_forward_progress 1
		.amdhsa_inst_pref_size 2
		.amdhsa_round_robin_scheduling 0
		.amdhsa_exception_fp_ieee_invalid_op 0
		.amdhsa_exception_fp_denorm_src 0
		.amdhsa_exception_fp_ieee_div_zero 0
		.amdhsa_exception_fp_ieee_overflow 0
		.amdhsa_exception_fp_ieee_underflow 0
		.amdhsa_exception_fp_ieee_inexact 0
		.amdhsa_exception_int_div_zero 0
	.end_amdhsa_kernel
	.section	.text._ZN9rocsolver6v33100L16reset_batch_infoIfiiPfEEvT2_lT0_T1_,"axG",@progbits,_ZN9rocsolver6v33100L16reset_batch_infoIfiiPfEEvT2_lT0_T1_,comdat
.Lfunc_end1:
	.size	_ZN9rocsolver6v33100L16reset_batch_infoIfiiPfEEvT2_lT0_T1_, .Lfunc_end1-_ZN9rocsolver6v33100L16reset_batch_infoIfiiPfEEvT2_lT0_T1_
                                        ; -- End function
	.set _ZN9rocsolver6v33100L16reset_batch_infoIfiiPfEEvT2_lT0_T1_.num_vgpr, 2
	.set _ZN9rocsolver6v33100L16reset_batch_infoIfiiPfEEvT2_lT0_T1_.num_agpr, 0
	.set _ZN9rocsolver6v33100L16reset_batch_infoIfiiPfEEvT2_lT0_T1_.numbered_sgpr, 12
	.set _ZN9rocsolver6v33100L16reset_batch_infoIfiiPfEEvT2_lT0_T1_.num_named_barrier, 0
	.set _ZN9rocsolver6v33100L16reset_batch_infoIfiiPfEEvT2_lT0_T1_.private_seg_size, 0
	.set _ZN9rocsolver6v33100L16reset_batch_infoIfiiPfEEvT2_lT0_T1_.uses_vcc, 1
	.set _ZN9rocsolver6v33100L16reset_batch_infoIfiiPfEEvT2_lT0_T1_.uses_flat_scratch, 0
	.set _ZN9rocsolver6v33100L16reset_batch_infoIfiiPfEEvT2_lT0_T1_.has_dyn_sized_stack, 0
	.set _ZN9rocsolver6v33100L16reset_batch_infoIfiiPfEEvT2_lT0_T1_.has_recursion, 0
	.set _ZN9rocsolver6v33100L16reset_batch_infoIfiiPfEEvT2_lT0_T1_.has_indirect_call, 0
	.section	.AMDGPU.csdata,"",@progbits
; Kernel info:
; codeLenInByte = 196
; TotalNumSgprs: 14
; NumVgprs: 2
; ScratchSize: 0
; MemoryBound: 0
; FloatMode: 240
; IeeeMode: 1
; LDSByteSize: 0 bytes/workgroup (compile time only)
; SGPRBlocks: 0
; VGPRBlocks: 0
; NumSGPRsForWavesPerEU: 14
; NumVGPRsForWavesPerEU: 2
; NamedBarCnt: 0
; Occupancy: 16
; WaveLimiterHint : 0
; COMPUTE_PGM_RSRC2:SCRATCH_EN: 0
; COMPUTE_PGM_RSRC2:USER_SGPR: 2
; COMPUTE_PGM_RSRC2:TRAP_HANDLER: 0
; COMPUTE_PGM_RSRC2:TGID_X_EN: 1
; COMPUTE_PGM_RSRC2:TGID_Y_EN: 1
; COMPUTE_PGM_RSRC2:TGID_Z_EN: 0
; COMPUTE_PGM_RSRC2:TIDIG_COMP_CNT: 0
	.section	.text._ZN9rocsolver6v33100L19stedcx_case1_kernelIfEEv15rocblas_erange_T_S3_PS3_lPiS4_l,"axG",@progbits,_ZN9rocsolver6v33100L19stedcx_case1_kernelIfEEv15rocblas_erange_T_S3_PS3_lPiS4_l,comdat
	.globl	_ZN9rocsolver6v33100L19stedcx_case1_kernelIfEEv15rocblas_erange_T_S3_PS3_lPiS4_l ; -- Begin function _ZN9rocsolver6v33100L19stedcx_case1_kernelIfEEv15rocblas_erange_T_S3_PS3_lPiS4_l
	.p2align	8
	.type	_ZN9rocsolver6v33100L19stedcx_case1_kernelIfEEv15rocblas_erange_T_S3_PS3_lPiS4_l,@function
_ZN9rocsolver6v33100L19stedcx_case1_kernelIfEEv15rocblas_erange_T_S3_PS3_lPiS4_l: ; @_ZN9rocsolver6v33100L19stedcx_case1_kernelIfEEv15rocblas_erange_T_S3_PS3_lPiS4_l
; %bb.0:
	s_load_b256 s[4:11], s[0:1], 0x10
	s_bfe_u32 s2, ttmp6, 0x4000c
	s_and_b32 s3, ttmp6, 15
	s_add_co_i32 s2, s2, 1
	s_getreg_b32 s12, hwreg(HW_REG_IB_STS2, 6, 4)
	s_mul_i32 s2, ttmp9, s2
	s_delay_alu instid0(SALU_CYCLE_1) | instskip(SKIP_3) | instid1(SALU_CYCLE_1)
	s_add_co_i32 s3, s3, s2
	s_cmp_eq_u32 s12, 0
	s_load_b96 s[12:14], s[0:1], 0x0
	s_cselect_b32 s2, ttmp9, s3
	s_ashr_i32 s3, s2, 31
	s_wait_kmcnt 0x0
	s_mul_u64 s[6:7], s[6:7], s[2:3]
	s_delay_alu instid0(SALU_CYCLE_1) | instskip(NEXT) | instid1(SALU_CYCLE_1)
	s_lshl_b64 s[6:7], s[6:7], 2
	s_add_nc_u64 s[4:5], s[4:5], s[6:7]
	s_load_b32 s4, s[4:5], 0x0
	s_wait_xcnt 0x0
	s_mov_b32 s5, 0
	s_cmp_lg_u32 s12, 0xe8
	s_cselect_b32 s6, -1, 0
	s_delay_alu instid0(SALU_CYCLE_1)
	s_and_b32 vcc_lo, exec_lo, s6
	s_cbranch_vccz .LBB2_4
; %bb.1:
	s_and_not1_b32 vcc_lo, exec_lo, s6
	s_cbranch_vccz .LBB2_5
.LBB2_2:
	s_and_not1_b32 vcc_lo, exec_lo, s5
	s_cbranch_vccz .LBB2_6
.LBB2_3:
	s_endpgm
.LBB2_4:
	s_wait_kmcnt 0x0
	s_cmp_nle_f32 s4, s13
	s_cselect_b32 s5, -1, 0
	s_cmp_ngt_f32 s4, s14
	s_cselect_b32 s6, -1, 0
	s_delay_alu instid0(SALU_CYCLE_1)
	s_and_b32 s6, s5, s6
	s_mov_b32 s5, -1
	s_and_not1_b32 vcc_lo, exec_lo, s6
	s_cbranch_vccnz .LBB2_2
.LBB2_5:
	s_load_b64 s[0:1], s[0:1], 0x30
	v_dual_mov_b32 v0, 0 :: v_dual_mov_b32 v1, 1
	s_lshl_b64 s[6:7], s[2:3], 2
	s_wait_kmcnt 0x0
	v_mov_b32_e32 v2, s4
	s_add_nc_u64 s[6:7], s[8:9], s[6:7]
	s_mul_u64 s[0:1], s[0:1], s[2:3]
	s_delay_alu instid0(SALU_CYCLE_1) | instskip(NEXT) | instid1(SALU_CYCLE_1)
	s_lshl_b64 s[0:1], s[0:1], 2
	s_add_nc_u64 s[0:1], s[10:11], s[0:1]
	s_clause 0x1
	global_store_b32 v0, v1, s[6:7]
	global_store_b32 v0, v2, s[0:1]
	s_cbranch_execnz .LBB2_3
.LBB2_6:
	s_wait_xcnt 0x0
	v_mov_b32_e32 v0, 0
	s_lshl_b64 s[0:1], s[2:3], 2
	s_delay_alu instid0(SALU_CYCLE_1)
	s_add_nc_u64 s[0:1], s[8:9], s[0:1]
	global_store_b32 v0, v0, s[0:1]
	s_endpgm
	.section	.rodata,"a",@progbits
	.p2align	6, 0x0
	.amdhsa_kernel _ZN9rocsolver6v33100L19stedcx_case1_kernelIfEEv15rocblas_erange_T_S3_PS3_lPiS4_l
		.amdhsa_group_segment_fixed_size 0
		.amdhsa_private_segment_fixed_size 0
		.amdhsa_kernarg_size 56
		.amdhsa_user_sgpr_count 2
		.amdhsa_user_sgpr_dispatch_ptr 0
		.amdhsa_user_sgpr_queue_ptr 0
		.amdhsa_user_sgpr_kernarg_segment_ptr 1
		.amdhsa_user_sgpr_dispatch_id 0
		.amdhsa_user_sgpr_kernarg_preload_length 0
		.amdhsa_user_sgpr_kernarg_preload_offset 0
		.amdhsa_user_sgpr_private_segment_size 0
		.amdhsa_wavefront_size32 1
		.amdhsa_uses_dynamic_stack 0
		.amdhsa_enable_private_segment 0
		.amdhsa_system_sgpr_workgroup_id_x 1
		.amdhsa_system_sgpr_workgroup_id_y 0
		.amdhsa_system_sgpr_workgroup_id_z 0
		.amdhsa_system_sgpr_workgroup_info 0
		.amdhsa_system_vgpr_workitem_id 0
		.amdhsa_next_free_vgpr 3
		.amdhsa_next_free_sgpr 15
		.amdhsa_named_barrier_count 0
		.amdhsa_reserve_vcc 1
		.amdhsa_float_round_mode_32 0
		.amdhsa_float_round_mode_16_64 0
		.amdhsa_float_denorm_mode_32 3
		.amdhsa_float_denorm_mode_16_64 3
		.amdhsa_fp16_overflow 0
		.amdhsa_memory_ordered 1
		.amdhsa_forward_progress 1
		.amdhsa_inst_pref_size 3
		.amdhsa_round_robin_scheduling 0
		.amdhsa_exception_fp_ieee_invalid_op 0
		.amdhsa_exception_fp_denorm_src 0
		.amdhsa_exception_fp_ieee_div_zero 0
		.amdhsa_exception_fp_ieee_overflow 0
		.amdhsa_exception_fp_ieee_underflow 0
		.amdhsa_exception_fp_ieee_inexact 0
		.amdhsa_exception_int_div_zero 0
	.end_amdhsa_kernel
	.section	.text._ZN9rocsolver6v33100L19stedcx_case1_kernelIfEEv15rocblas_erange_T_S3_PS3_lPiS4_l,"axG",@progbits,_ZN9rocsolver6v33100L19stedcx_case1_kernelIfEEv15rocblas_erange_T_S3_PS3_lPiS4_l,comdat
.Lfunc_end2:
	.size	_ZN9rocsolver6v33100L19stedcx_case1_kernelIfEEv15rocblas_erange_T_S3_PS3_lPiS4_l, .Lfunc_end2-_ZN9rocsolver6v33100L19stedcx_case1_kernelIfEEv15rocblas_erange_T_S3_PS3_lPiS4_l
                                        ; -- End function
	.set _ZN9rocsolver6v33100L19stedcx_case1_kernelIfEEv15rocblas_erange_T_S3_PS3_lPiS4_l.num_vgpr, 3
	.set _ZN9rocsolver6v33100L19stedcx_case1_kernelIfEEv15rocblas_erange_T_S3_PS3_lPiS4_l.num_agpr, 0
	.set _ZN9rocsolver6v33100L19stedcx_case1_kernelIfEEv15rocblas_erange_T_S3_PS3_lPiS4_l.numbered_sgpr, 15
	.set _ZN9rocsolver6v33100L19stedcx_case1_kernelIfEEv15rocblas_erange_T_S3_PS3_lPiS4_l.num_named_barrier, 0
	.set _ZN9rocsolver6v33100L19stedcx_case1_kernelIfEEv15rocblas_erange_T_S3_PS3_lPiS4_l.private_seg_size, 0
	.set _ZN9rocsolver6v33100L19stedcx_case1_kernelIfEEv15rocblas_erange_T_S3_PS3_lPiS4_l.uses_vcc, 1
	.set _ZN9rocsolver6v33100L19stedcx_case1_kernelIfEEv15rocblas_erange_T_S3_PS3_lPiS4_l.uses_flat_scratch, 0
	.set _ZN9rocsolver6v33100L19stedcx_case1_kernelIfEEv15rocblas_erange_T_S3_PS3_lPiS4_l.has_dyn_sized_stack, 0
	.set _ZN9rocsolver6v33100L19stedcx_case1_kernelIfEEv15rocblas_erange_T_S3_PS3_lPiS4_l.has_recursion, 0
	.set _ZN9rocsolver6v33100L19stedcx_case1_kernelIfEEv15rocblas_erange_T_S3_PS3_lPiS4_l.has_indirect_call, 0
	.section	.AMDGPU.csdata,"",@progbits
; Kernel info:
; codeLenInByte = 296
; TotalNumSgprs: 17
; NumVgprs: 3
; ScratchSize: 0
; MemoryBound: 0
; FloatMode: 240
; IeeeMode: 1
; LDSByteSize: 0 bytes/workgroup (compile time only)
; SGPRBlocks: 0
; VGPRBlocks: 0
; NumSGPRsForWavesPerEU: 17
; NumVGPRsForWavesPerEU: 3
; NamedBarCnt: 0
; Occupancy: 16
; WaveLimiterHint : 0
; COMPUTE_PGM_RSRC2:SCRATCH_EN: 0
; COMPUTE_PGM_RSRC2:USER_SGPR: 2
; COMPUTE_PGM_RSRC2:TRAP_HANDLER: 0
; COMPUTE_PGM_RSRC2:TGID_X_EN: 1
; COMPUTE_PGM_RSRC2:TGID_Y_EN: 0
; COMPUTE_PGM_RSRC2:TGID_Z_EN: 0
; COMPUTE_PGM_RSRC2:TIDIG_COMP_CNT: 0
	.section	.text._ZN9rocsolver6v33100L10init_identIfPfEEviiT0_iil,"axG",@progbits,_ZN9rocsolver6v33100L10init_identIfPfEEviiT0_iil,comdat
	.globl	_ZN9rocsolver6v33100L10init_identIfPfEEviiT0_iil ; -- Begin function _ZN9rocsolver6v33100L10init_identIfPfEEviiT0_iil
	.p2align	8
	.type	_ZN9rocsolver6v33100L10init_identIfPfEEviiT0_iil,@function
_ZN9rocsolver6v33100L10init_identIfPfEEviiT0_iil: ; @_ZN9rocsolver6v33100L10init_identIfPfEEviiT0_iil
; %bb.0:
	s_clause 0x1
	s_load_b32 s5, s[0:1], 0x2c
	s_load_b64 s[2:3], s[0:1], 0x0
	s_bfe_u32 s7, ttmp6, 0x40010
	s_bfe_u32 s10, ttmp6, 0x4000c
	s_and_b32 s6, ttmp7, 0xffff
	s_add_co_i32 s7, s7, 1
	s_add_co_i32 s10, s10, 1
	s_bfe_u32 s8, ttmp6, 0x40004
	s_and_b32 s9, ttmp6, 15
	s_mul_i32 s7, s6, s7
	s_mul_i32 s10, ttmp9, s10
	s_getreg_b32 s4, hwreg(HW_REG_IB_STS2, 6, 4)
	v_and_b32_e32 v1, 0x3ff, v0
	v_bfe_u32 v0, v0, 10, 10
	s_add_co_i32 s8, s8, s7
	s_add_co_i32 s9, s9, s10
	s_wait_kmcnt 0x0
	s_lshr_b32 s7, s5, 16
	s_and_b32 s5, s5, 0xffff
	s_cmp_eq_u32 s4, 0
	s_cselect_b32 s9, ttmp9, s9
	s_cselect_b32 s6, s6, s8
	v_mad_u32 v2, s9, s5, v1
	v_mad_u32 v1, s6, s7, v0
	s_delay_alu instid0(VALU_DEP_2) | instskip(NEXT) | instid1(VALU_DEP_2)
	v_cmp_gt_u32_e32 vcc_lo, s2, v2
	v_cmp_gt_u32_e64 s2, s3, v1
	s_and_b32 s2, vcc_lo, s2
	s_delay_alu instid0(SALU_CYCLE_1)
	s_and_saveexec_b32 s3, s2
	s_cbranch_execz .LBB3_6
; %bb.1:
	s_load_b64 s[2:3], s[0:1], 0x10
	s_mov_b32 s5, exec_lo
                                        ; implicit-def: $vgpr0
	v_cmpx_ne_u32_e64 v2, v1
	s_xor_b32 s5, exec_lo, s5
	s_cbranch_execz .LBB3_3
; %bb.2:
	s_wait_kmcnt 0x0
	v_mad_u32 v0, v1, s3, v2
                                        ; implicit-def: $vgpr2
.LBB3_3:
	s_or_saveexec_b32 s5, s5
	v_mov_b32_e32 v1, 0
	s_xor_b32 exec_lo, exec_lo, s5
	s_cbranch_execz .LBB3_5
; %bb.4:
	s_wait_kmcnt 0x0
	v_mad_u32 v0, v2, s3, v2
	v_mov_b32_e32 v1, 1.0
.LBB3_5:
	s_or_b32 exec_lo, exec_lo, s5
	s_clause 0x1
	s_load_b64 s[6:7], s[0:1], 0x18
	s_load_b64 s[8:9], s[0:1], 0x8
	s_wait_xcnt 0x0
	s_bfe_u32 s0, ttmp6, 0x40014
	s_lshr_b32 s5, ttmp7, 16
	s_add_co_i32 s0, s0, 1
	s_bfe_u32 s1, ttmp6, 0x40008
	s_mul_i32 s0, s5, s0
	s_wait_kmcnt 0x0
	s_ashr_i32 s3, s2, 31
	s_add_co_i32 s0, s1, s0
	s_cmp_eq_u32 s4, 0
	s_mov_b32 s1, 0
	s_cselect_b32 s0, s5, s0
	s_lshl_b64 s[2:3], s[2:3], 2
	s_mul_u64 s[0:1], s[6:7], s[0:1]
	s_delay_alu instid0(SALU_CYCLE_1) | instskip(NEXT) | instid1(SALU_CYCLE_1)
	s_lshl_b64 s[0:1], s[0:1], 2
	s_add_nc_u64 s[0:1], s[8:9], s[0:1]
	s_delay_alu instid0(SALU_CYCLE_1)
	s_add_nc_u64 s[0:1], s[0:1], s[2:3]
	global_store_b32 v0, v1, s[0:1] scale_offset
.LBB3_6:
	s_endpgm
	.section	.rodata,"a",@progbits
	.p2align	6, 0x0
	.amdhsa_kernel _ZN9rocsolver6v33100L10init_identIfPfEEviiT0_iil
		.amdhsa_group_segment_fixed_size 0
		.amdhsa_private_segment_fixed_size 0
		.amdhsa_kernarg_size 288
		.amdhsa_user_sgpr_count 2
		.amdhsa_user_sgpr_dispatch_ptr 0
		.amdhsa_user_sgpr_queue_ptr 0
		.amdhsa_user_sgpr_kernarg_segment_ptr 1
		.amdhsa_user_sgpr_dispatch_id 0
		.amdhsa_user_sgpr_kernarg_preload_length 0
		.amdhsa_user_sgpr_kernarg_preload_offset 0
		.amdhsa_user_sgpr_private_segment_size 0
		.amdhsa_wavefront_size32 1
		.amdhsa_uses_dynamic_stack 0
		.amdhsa_enable_private_segment 0
		.amdhsa_system_sgpr_workgroup_id_x 1
		.amdhsa_system_sgpr_workgroup_id_y 1
		.amdhsa_system_sgpr_workgroup_id_z 1
		.amdhsa_system_sgpr_workgroup_info 0
		.amdhsa_system_vgpr_workitem_id 1
		.amdhsa_next_free_vgpr 3
		.amdhsa_next_free_sgpr 11
		.amdhsa_named_barrier_count 0
		.amdhsa_reserve_vcc 1
		.amdhsa_float_round_mode_32 0
		.amdhsa_float_round_mode_16_64 0
		.amdhsa_float_denorm_mode_32 3
		.amdhsa_float_denorm_mode_16_64 3
		.amdhsa_fp16_overflow 0
		.amdhsa_memory_ordered 1
		.amdhsa_forward_progress 1
		.amdhsa_inst_pref_size 3
		.amdhsa_round_robin_scheduling 0
		.amdhsa_exception_fp_ieee_invalid_op 0
		.amdhsa_exception_fp_denorm_src 0
		.amdhsa_exception_fp_ieee_div_zero 0
		.amdhsa_exception_fp_ieee_overflow 0
		.amdhsa_exception_fp_ieee_underflow 0
		.amdhsa_exception_fp_ieee_inexact 0
		.amdhsa_exception_int_div_zero 0
	.end_amdhsa_kernel
	.section	.text._ZN9rocsolver6v33100L10init_identIfPfEEviiT0_iil,"axG",@progbits,_ZN9rocsolver6v33100L10init_identIfPfEEviiT0_iil,comdat
.Lfunc_end3:
	.size	_ZN9rocsolver6v33100L10init_identIfPfEEviiT0_iil, .Lfunc_end3-_ZN9rocsolver6v33100L10init_identIfPfEEviiT0_iil
                                        ; -- End function
	.set _ZN9rocsolver6v33100L10init_identIfPfEEviiT0_iil.num_vgpr, 3
	.set _ZN9rocsolver6v33100L10init_identIfPfEEviiT0_iil.num_agpr, 0
	.set _ZN9rocsolver6v33100L10init_identIfPfEEviiT0_iil.numbered_sgpr, 11
	.set _ZN9rocsolver6v33100L10init_identIfPfEEviiT0_iil.num_named_barrier, 0
	.set _ZN9rocsolver6v33100L10init_identIfPfEEviiT0_iil.private_seg_size, 0
	.set _ZN9rocsolver6v33100L10init_identIfPfEEviiT0_iil.uses_vcc, 1
	.set _ZN9rocsolver6v33100L10init_identIfPfEEviiT0_iil.uses_flat_scratch, 0
	.set _ZN9rocsolver6v33100L10init_identIfPfEEviiT0_iil.has_dyn_sized_stack, 0
	.set _ZN9rocsolver6v33100L10init_identIfPfEEviiT0_iil.has_recursion, 0
	.set _ZN9rocsolver6v33100L10init_identIfPfEEviiT0_iil.has_indirect_call, 0
	.section	.AMDGPU.csdata,"",@progbits
; Kernel info:
; codeLenInByte = 372
; TotalNumSgprs: 13
; NumVgprs: 3
; ScratchSize: 0
; MemoryBound: 0
; FloatMode: 240
; IeeeMode: 1
; LDSByteSize: 0 bytes/workgroup (compile time only)
; SGPRBlocks: 0
; VGPRBlocks: 0
; NumSGPRsForWavesPerEU: 13
; NumVGPRsForWavesPerEU: 3
; NamedBarCnt: 0
; Occupancy: 16
; WaveLimiterHint : 0
; COMPUTE_PGM_RSRC2:SCRATCH_EN: 0
; COMPUTE_PGM_RSRC2:USER_SGPR: 2
; COMPUTE_PGM_RSRC2:TRAP_HANDLER: 0
; COMPUTE_PGM_RSRC2:TGID_X_EN: 1
; COMPUTE_PGM_RSRC2:TGID_Y_EN: 1
; COMPUTE_PGM_RSRC2:TGID_Z_EN: 1
; COMPUTE_PGM_RSRC2:TIDIG_COMP_CNT: 1
	.section	.text._ZN9rocsolver6v33100L19stedcx_split_kernelIfEEv15rocblas_erange_iT_S3_iiPS3_lS4_lS4_lPiS4_S3_S3_,"axG",@progbits,_ZN9rocsolver6v33100L19stedcx_split_kernelIfEEv15rocblas_erange_iT_S3_iiPS3_lS4_lS4_lPiS4_S3_S3_,comdat
	.globl	_ZN9rocsolver6v33100L19stedcx_split_kernelIfEEv15rocblas_erange_iT_S3_iiPS3_lS4_lS4_lPiS4_S3_S3_ ; -- Begin function _ZN9rocsolver6v33100L19stedcx_split_kernelIfEEv15rocblas_erange_iT_S3_iiPS3_lS4_lS4_lPiS4_S3_S3_
	.p2align	8
	.type	_ZN9rocsolver6v33100L19stedcx_split_kernelIfEEv15rocblas_erange_iT_S3_iiPS3_lS4_lS4_lPiS4_S3_S3_,@function
_ZN9rocsolver6v33100L19stedcx_split_kernelIfEEv15rocblas_erange_iT_S3_iiPS3_lS4_lS4_lPiS4_S3_S3_: ; @_ZN9rocsolver6v33100L19stedcx_split_kernelIfEEv15rocblas_erange_iT_S3_iiPS3_lS4_lS4_lPiS4_S3_S3_
; %bb.0:
	s_clause 0x1
	s_load_b512 s[4:19], s[0:1], 0x18
	s_load_b128 s[20:23], s[0:1], 0x0
	s_bfe_u32 s2, ttmp6, 0x40010
	s_load_b64 s[24:25], s[0:1], 0x10
	s_add_co_i32 s2, s2, 1
	s_bfe_u32 s3, ttmp6, 0x40004
	s_mul_i32 s2, ttmp7, s2
	s_getreg_b32 s26, hwreg(HW_REG_IB_STS2, 6, 4)
	s_add_co_i32 s3, s3, s2
	s_cmp_eq_u32 s26, 0
	v_lshlrev_b32_e32 v2, 2, v0
	s_cselect_b32 s26, ttmp7, s3
	s_mov_b32 s3, 0
	s_ashr_i32 s27, s26, 31
	s_wait_kmcnt 0x0
	s_mul_u64 s[42:43], s[6:7], s[26:27]
	s_ashr_i32 s7, s21, 31
	s_lshl_b32 s33, s21, 2
	v_cmp_gt_i32_e32 vcc_lo, s21, v0
	s_cmp_eq_u32 s20, 0xe9
	s_mov_b32 s6, s21
	s_cselect_b32 s49, -1, 0
	s_delay_alu instid0(SALU_CYCLE_1) | instskip(NEXT) | instid1(SALU_CYCLE_1)
	s_and_b32 s2, s49, vcc_lo
	s_and_saveexec_b32 s30, s2
	s_cbranch_execz .LBB4_3
; %bb.1:
	s_add_co_i32 s2, s33, 2
	s_load_b32 s31, s[0:1], 0x6c
	s_mul_i32 s28, s26, s2
	s_lshl_b64 s[34:35], s[6:7], 2
	s_ashr_i32 s29, s28, 31
	v_dual_mov_b32 v3, 0 :: v_dual_mov_b32 v1, v0
	s_lshl_b64 s[28:29], s[28:29], 2
	s_delay_alu instid0(SALU_CYCLE_1) | instskip(SKIP_2) | instid1(SALU_CYCLE_1)
	s_add_nc_u64 s[28:29], s[34:35], s[28:29]
	s_mov_b32 s34, s3
	s_add_nc_u64 s[28:29], s[18:19], s[28:29]
	v_add_nc_u64_e32 v[4:5], s[28:29], v[2:3]
	s_lshl_b64 s[28:29], s[42:43], 2
	s_delay_alu instid0(SALU_CYCLE_1) | instskip(NEXT) | instid1(SALU_CYCLE_1)
	s_add_nc_u64 s[28:29], s[4:5], s[28:29]
	v_add_nc_u64_e32 v[6:7], s[28:29], v[2:3]
	s_mov_b64 s[28:29], 0
	s_delay_alu instid0(VALU_DEP_2) | instskip(SKIP_2) | instid1(SALU_CYCLE_1)
	v_add_nc_u64_e32 v[4:5], 8, v[4:5]
	s_wait_kmcnt 0x0
	s_and_b32 s31, s31, 0xffff
	s_lshl_b32 s2, s31, 2
.LBB4_2:                                ; =>This Inner Loop Header: Depth=1
	s_delay_alu instid0(VALU_DEP_2) | instskip(SKIP_1) | instid1(VALU_DEP_1)
	v_add_nc_u64_e32 v[8:9], s[28:29], v[6:7]
	v_add_nc_u32_e32 v1, s31, v1
	v_cmp_le_i32_e32 vcc_lo, s21, v1
	global_load_b32 v3, v[8:9], off
	s_wait_xcnt 0x0
	v_add_nc_u64_e32 v[8:9], s[28:29], v[4:5]
	s_add_nc_u64 s[28:29], s[28:29], s[2:3]
	s_or_b32 s34, vcc_lo, s34
	s_wait_loadcnt 0x0
	global_store_b32 v[8:9], v3, off
	s_wait_xcnt 0x0
	s_and_not1_b32 exec_lo, exec_lo, s34
	s_cbranch_execnz .LBB4_2
.LBB4_3:
	s_or_b32 exec_lo, exec_lo, s30
	s_add_co_i32 s48, s21, -1
	v_dual_mov_b32 v4, 0 :: v_dual_mov_b32 v6, 0
	s_ashr_i32 s2, s48, 31
	s_mov_b32 s30, -1
	s_lshr_b32 s2, s2, 24
	s_delay_alu instid0(SALU_CYCLE_1) | instskip(NEXT) | instid1(SALU_CYCLE_1)
	s_add_co_i32 s2, s48, s2
	s_and_b32 s3, s2, 0xffffff00
	s_ashr_i32 s2, s2, 8
	s_sub_co_i32 s3, s48, s3
	s_delay_alu instid0(SALU_CYCLE_1)
	v_cmp_gt_i32_e32 vcc_lo, s3, v0
	v_add_co_ci_u32_e64 v1, null, s2, 0, vcc_lo
	v_cmp_eq_u32_e64 s2, 0, v0
	v_cmp_ne_u32_e32 vcc_lo, 0, v0
	ds_store_b32 v2, v1
	s_wait_storecnt_dscnt 0x0
	s_barrier_signal -1
	s_barrier_wait -1
	s_and_saveexec_b32 s28, vcc_lo
	s_cbranch_execz .LBB4_19
; %bb.4:
	v_dual_mov_b32 v6, 0 :: v_dual_mov_b32 v3, 0
	s_mov_b32 s29, exec_lo
	v_cmpx_lt_u32_e32 3, v0
	s_cbranch_execz .LBB4_14
; %bb.5:
	v_dual_mov_b32 v10, 0 :: v_dual_add_nc_u32 v3, -4, v0
	v_mov_b64_e32 v[6:7], 0
	v_mov_b64_e32 v[8:9], 0
	s_delay_alu instid0(VALU_DEP_3) | instskip(SKIP_1) | instid1(VALU_DEP_2)
	v_lshrrev_b32_e32 v5, 2, v3
	v_cmp_lt_u32_e64 s3, 27, v3
	v_add_nc_u32_e32 v3, 1, v5
	s_and_saveexec_b32 s30, s3
	s_cbranch_execz .LBB4_9
; %bb.6:
	s_delay_alu instid0(VALU_DEP_1)
	v_and_b32_e32 v5, 0x7ffffff8, v3
	v_dual_mov_b32 v9, 0 :: v_dual_mov_b32 v8, 0
	v_dual_mov_b32 v7, 0 :: v_dual_mov_b32 v6, 0
	s_mov_b32 s31, 0
	s_mov_b32 s34, 0
	;; [unrolled: 1-line block ×3, first 2 shown]
.LBB4_7:                                ; =>This Inner Loop Header: Depth=1
	v_mov_b32_e32 v30, s34
	s_add_co_i32 s35, s35, 32
	s_addk_co_i32 s34, 0x80
	ds_load_b128 v[10:13], v30
	ds_load_b128 v[14:17], v30 offset:16
	ds_load_b128 v[18:21], v30 offset:32
	ds_load_b128 v[22:25], v30 offset:48
	ds_load_b128 v[26:29], v30 offset:64
	v_add_nc_u32_e32 v5, -8, v5
	s_delay_alu instid0(VALU_DEP_1)
	v_cmp_eq_u32_e64 s3, 0, v5
	s_or_b32 s31, s3, s31
	s_wait_dscnt 0x4
	v_dual_add_nc_u32 v11, v11, v9 :: v_dual_add_nc_u32 v10, v10, v8
	v_dual_add_nc_u32 v13, v13, v7 :: v_dual_add_nc_u32 v12, v12, v6
	ds_load_b128 v[6:9], v30 offset:80
	s_wait_dscnt 0x4
	v_dual_add_nc_u32 v11, v15, v11 :: v_dual_add_nc_u32 v10, v14, v10
	v_dual_add_nc_u32 v17, v17, v13 :: v_dual_add_nc_u32 v16, v16, v12
	ds_load_b128 v[12:15], v30 offset:96
	;; [unrolled: 4-line block ×3, first 2 shown]
	s_wait_dscnt 0x4
	v_dual_add_nc_u32 v11, v23, v11 :: v_dual_add_nc_u32 v10, v22, v10
	v_dual_add_nc_u32 v21, v25, v21 :: v_dual_add_nc_u32 v20, v24, v20
	s_wait_dscnt 0x3
	s_delay_alu instid0(VALU_DEP_2) | instskip(NEXT) | instid1(VALU_DEP_2)
	v_dual_add_nc_u32 v11, v27, v11 :: v_dual_add_nc_u32 v10, v26, v10
	v_dual_add_nc_u32 v21, v29, v21 :: v_dual_add_nc_u32 v20, v28, v20
	s_wait_dscnt 0x2
	s_delay_alu instid0(VALU_DEP_2) | instskip(NEXT) | instid1(VALU_DEP_2)
	;; [unrolled: 4-line block ×3, first 2 shown]
	v_dual_mov_b32 v10, s35 :: v_dual_add_nc_u32 v7, v13, v7
	v_dual_add_nc_u32 v6, v12, v6 :: v_dual_add_nc_u32 v11, v15, v9
	s_wait_dscnt 0x0
	s_delay_alu instid0(VALU_DEP_2) | instskip(NEXT) | instid1(VALU_DEP_2)
	v_dual_add_nc_u32 v12, v14, v8 :: v_dual_add_nc_u32 v9, v17, v7
	v_dual_add_nc_u32 v8, v16, v6 :: v_dual_add_nc_u32 v7, v19, v11
	s_delay_alu instid0(VALU_DEP_2)
	v_add_nc_u32_e32 v6, v18, v12
	s_and_not1_b32 exec_lo, exec_lo, s31
	s_cbranch_execnz .LBB4_7
; %bb.8:
	s_or_b32 exec_lo, exec_lo, s31
.LBB4_9:
	s_delay_alu instid0(SALU_CYCLE_1) | instskip(NEXT) | instid1(VALU_DEP_1)
	s_or_b32 exec_lo, exec_lo, s30
	v_and_b32_e32 v3, 7, v3
	s_mov_b32 s31, 0
	s_mov_b32 s30, exec_lo
	s_delay_alu instid0(VALU_DEP_1)
	v_cmpx_ne_u32_e32 0, v3
	s_cbranch_execz .LBB4_13
; %bb.10:
	v_lshlrev_b32_e32 v5, 2, v10
.LBB4_11:                               ; =>This Inner Loop Header: Depth=1
	ds_load_b128 v[10:13], v5
	v_dual_add_nc_u32 v3, -1, v3 :: v_dual_add_nc_u32 v5, 16, v5
	s_delay_alu instid0(VALU_DEP_1)
	v_cmp_eq_u32_e64 s3, 0, v3
	s_or_b32 s31, s3, s31
	s_wait_dscnt 0x0
	v_dual_add_nc_u32 v9, v11, v9 :: v_dual_add_nc_u32 v8, v10, v8
	v_dual_add_nc_u32 v7, v13, v7 :: v_dual_add_nc_u32 v6, v12, v6
	s_and_not1_b32 exec_lo, exec_lo, s31
	s_cbranch_execnz .LBB4_11
; %bb.12:
	s_or_b32 exec_lo, exec_lo, s31
.LBB4_13:
	s_delay_alu instid0(SALU_CYCLE_1) | instskip(SKIP_2) | instid1(VALU_DEP_2)
	s_or_b32 exec_lo, exec_lo, s30
	v_and_b32_e32 v3, 0xfc, v0
	v_add_nc_u32_e32 v5, v7, v9
	v_cmp_ne_u32_e64 s3, v0, v3
	s_delay_alu instid0(VALU_DEP_2)
	v_add3_u32 v6, v6, v8, v5
	s_or_not1_b32 s30, s3, exec_lo
.LBB4_14:
	s_or_b32 exec_lo, exec_lo, s29
	s_and_saveexec_b32 s29, s30
	s_cbranch_execz .LBB4_18
; %bb.15:
	v_dual_sub_nc_u32 v5, v0, v3 :: v_dual_lshlrev_b32 v3, 2, v3
	s_mov_b32 s30, 0
.LBB4_16:                               ; =>This Inner Loop Header: Depth=1
	ds_load_b32 v7, v3
	v_dual_add_nc_u32 v5, -1, v5 :: v_dual_add_nc_u32 v3, 4, v3
	s_delay_alu instid0(VALU_DEP_1)
	v_cmp_eq_u32_e64 s3, 0, v5
	s_or_b32 s30, s3, s30
	s_wait_dscnt 0x0
	v_add_nc_u32_e32 v6, v7, v6
	s_and_not1_b32 exec_lo, exec_lo, s30
	s_cbranch_execnz .LBB4_16
; %bb.17:
	s_or_b32 exec_lo, exec_lo, s30
.LBB4_18:
	s_delay_alu instid0(SALU_CYCLE_1)
	s_or_b32 exec_lo, exec_lo, s29
.LBB4_19:
	s_delay_alu instid0(SALU_CYCLE_1)
	s_or_b32 exec_lo, exec_lo, s28
	s_load_b64 s[36:37], s[0:1], 0x58
	s_mul_i32 s3, s21, 5
	s_lshl_b32 s34, s21, 1
	s_wait_xcnt 0x0
	s_add_co_i32 s0, s3, 2
	s_lshl_b64 s[30:31], s[6:7], 2
	s_mul_i32 s0, s0, s26
	s_ashr_i32 s35, s34, 31
	s_ashr_i32 s1, s0, 31
	v_ashrrev_i32_e32 v7, 31, v6
	s_lshl_b64 s[28:29], s[0:1], 2
	s_lshl_b64 s[40:41], s[34:35], 2
	s_add_nc_u64 s[46:47], s[16:17], s[28:29]
	s_mul_u64 s[44:45], s[14:15], s[26:27]
	s_add_nc_u64 s[38:39], s[46:47], s[30:31]
	s_mov_b32 s1, exec_lo
	s_add_nc_u64 s[14:15], s[38:39], s[40:41]
	v_cmpx_lt_i32_e32 0, v1
	s_cbranch_execz .LBB4_25
; %bb.20:
	s_add_co_i32 s0, s33, 2
	v_lshlrev_b64_e32 v[4:5], 2, v[6:7]
	s_mul_i32 s50, s26, s0
	s_mul_u64 s[10:11], s[10:11], s[26:27]
	s_ashr_i32 s51, s50, 31
	s_lshl_b64 s[52:53], s[42:43], 2
	s_lshl_b64 s[50:51], s[50:51], 2
	;; [unrolled: 1-line block ×3, first 2 shown]
	s_add_nc_u64 s[50:51], s[18:19], s[50:51]
	s_lshl_b64 s[10:11], s[10:11], 2
	v_add_nc_u64_e32 v[14:15], s[50:51], v[4:5]
	s_add_nc_u64 s[50:51], s[4:5], s[52:53]
	s_add_nc_u64 s[52:53], s[12:13], s[54:55]
	s_add_nc_u64 s[8:9], s[8:9], s[10:11]
	v_add_nc_u64_e32 v[8:9], s[14:15], v[4:5]
	v_add_nc_u64_e32 v[10:11], s[8:9], v[4:5]
	;; [unrolled: 1-line block ×5, first 2 shown]
	v_dual_mov_b32 v4, 0 :: v_dual_mov_b32 v3, v6
	s_mov_b32 s3, 0
	s_branch .LBB4_22
.LBB4_21:                               ;   in Loop: Header=BB4_22 Depth=1
	s_wait_xcnt 0x0
	s_or_b32 exec_lo, exec_lo, s8
	v_dual_add_nc_u32 v1, -1, v1 :: v_dual_add_nc_u32 v3, 1, v3
	global_store_b32 v[14:15], v21, off
	global_store_b32 v[16:17], v19, off
	s_wait_xcnt 0x1
	v_add_nc_u64_e32 v[14:15], 4, v[14:15]
	v_add_nc_u64_e32 v[10:11], 4, v[10:11]
	;; [unrolled: 1-line block ×3, first 2 shown]
	v_cmp_eq_u32_e64 s0, 0, v1
	s_wait_xcnt 0x0
	v_add_nc_u64_e32 v[16:17], 4, v[16:17]
	s_or_b32 s3, s0, s3
	s_delay_alu instid0(SALU_CYCLE_1)
	s_and_not1_b32 exec_lo, exec_lo, s3
	s_cbranch_execz .LBB4_24
.LBB4_22:                               ; =>This Inner Loop Header: Depth=1
	global_load_b64 v[20:21], v[12:13], off
	global_load_b32 v19, v[10:11], off
	s_mov_b32 s8, exec_lo
	s_wait_loadcnt 0x1
	s_wait_kmcnt 0x0
	v_dual_mov_b32 v18, s36 :: v_dual_mul_f32 v5, v20, v21
	s_wait_loadcnt 0x0
	v_mov_b32_e32 v21, v19
	s_delay_alu instid0(VALU_DEP_2) | instskip(NEXT) | instid1(VALU_DEP_1)
	v_mul_f32_e64 v20, s36, |v5|
	v_pk_mul_f32 v[20:21], v[18:19], v[20:21]
	s_delay_alu instid0(VALU_DEP_1) | instskip(SKIP_1) | instid1(VALU_DEP_1)
	v_add_f32_e32 v5, s37, v20
	s_wait_xcnt 0x0
	v_cmpx_gt_f32_e32 v5, v21
	s_cbranch_execz .LBB4_21
; %bb.23:                               ;   in Loop: Header=BB4_22 Depth=1
	v_dual_ashrrev_i32 v5, 31, v4 :: v_dual_add_nc_u32 v18, 1, v4
	v_dual_mov_b32 v21, 0 :: v_dual_mov_b32 v19, 0
	s_delay_alu instid0(VALU_DEP_2) | instskip(NEXT) | instid1(VALU_DEP_3)
	v_lshl_add_u64 v[22:23], v[4:5], 2, v[8:9]
	v_mov_b32_e32 v4, v18
	global_store_b32 v[22:23], v3, off offset:8
	s_branch .LBB4_21
.LBB4_24:
	s_or_b32 exec_lo, exec_lo, s3
.LBB4_25:
	s_delay_alu instid0(SALU_CYCLE_1)
	s_or_b32 exec_lo, exec_lo, s1
	v_mov_b32_e32 v8, 1
	ds_store_b32 v2, v4
	s_wait_storecnt_dscnt 0x0
	s_barrier_signal -1
	s_barrier_wait -1
	s_and_saveexec_b32 s0, vcc_lo
	s_cbranch_execz .LBB4_41
; %bb.26:
	v_dual_mov_b32 v1, 0 :: v_dual_mov_b32 v8, 1
	s_mov_b32 s3, -1
	s_mov_b32 s1, exec_lo
	v_cmpx_lt_u32_e32 3, v0
	s_cbranch_execz .LBB4_36
; %bb.27:
	v_dual_add_nc_u32 v1, -4, v0 :: v_dual_mov_b32 v5, 0
	v_mov_b64_e32 v[8:9], 1
	v_mov_b64_e32 v[10:11], 0
	s_delay_alu instid0(VALU_DEP_3) | instskip(SKIP_1) | instid1(VALU_DEP_2)
	v_lshrrev_b32_e32 v3, 2, v1
	v_cmp_lt_u32_e32 vcc_lo, 27, v1
	v_add_nc_u32_e32 v1, 1, v3
	s_and_saveexec_b32 s3, vcc_lo
	s_cbranch_execz .LBB4_31
; %bb.28:
	s_delay_alu instid0(VALU_DEP_1)
	v_and_b32_e32 v3, 0x7ffffff8, v1
	v_dual_mov_b32 v9, 0 :: v_dual_mov_b32 v8, 1
	v_dual_mov_b32 v11, 0 :: v_dual_mov_b32 v10, 0
	s_mov_b32 s8, 0
	s_mov_b32 s9, 0
	;; [unrolled: 1-line block ×3, first 2 shown]
.LBB4_29:                               ; =>This Inner Loop Header: Depth=1
	v_mov_b32_e32 v5, s9
	s_add_co_i32 s10, s10, 32
	s_addk_co_i32 s9, 0x80
	ds_load_b128 v[12:15], v5
	ds_load_b128 v[16:19], v5 offset:16
	ds_load_b128 v[20:23], v5 offset:32
	;; [unrolled: 1-line block ×4, first 2 shown]
	v_add_nc_u32_e32 v3, -8, v3
	s_delay_alu instid0(VALU_DEP_1)
	v_cmp_eq_u32_e32 vcc_lo, 0, v3
	s_or_b32 s8, vcc_lo, s8
	s_wait_dscnt 0x4
	v_dual_add_nc_u32 v13, v13, v9 :: v_dual_add_nc_u32 v12, v12, v8
	v_dual_add_nc_u32 v15, v15, v11 :: v_dual_add_nc_u32 v14, v14, v10
	ds_load_b128 v[8:11], v5 offset:80
	s_wait_dscnt 0x4
	v_dual_add_nc_u32 v17, v17, v13 :: v_dual_add_nc_u32 v16, v16, v12
	v_dual_add_nc_u32 v19, v19, v15 :: v_dual_add_nc_u32 v18, v18, v14
	ds_load_b128 v[12:15], v5 offset:96
	;; [unrolled: 4-line block ×3, first 2 shown]
	s_wait_dscnt 0x4
	v_dual_add_nc_u32 v5, v25, v21 :: v_dual_add_nc_u32 v20, v24, v20
	v_dual_add_nc_u32 v21, v27, v23 :: v_dual_add_nc_u32 v22, v26, v22
	s_wait_dscnt 0x3
	s_delay_alu instid0(VALU_DEP_2) | instskip(NEXT) | instid1(VALU_DEP_2)
	v_dual_add_nc_u32 v5, v29, v5 :: v_dual_add_nc_u32 v20, v28, v20
	v_dual_add_nc_u32 v21, v31, v21 :: v_dual_add_nc_u32 v22, v30, v22
	s_wait_dscnt 0x2
	s_delay_alu instid0(VALU_DEP_2) | instskip(NEXT) | instid1(VALU_DEP_2)
	;; [unrolled: 4-line block ×3, first 2 shown]
	v_dual_mov_b32 v5, s10 :: v_dual_add_nc_u32 v9, v13, v9
	v_dual_add_nc_u32 v8, v12, v8 :: v_dual_add_nc_u32 v11, v15, v11
	s_wait_dscnt 0x0
	s_delay_alu instid0(VALU_DEP_2) | instskip(NEXT) | instid1(VALU_DEP_2)
	v_dual_add_nc_u32 v10, v14, v10 :: v_dual_add_nc_u32 v9, v17, v9
	v_dual_add_nc_u32 v8, v16, v8 :: v_dual_add_nc_u32 v11, v19, v11
	s_delay_alu instid0(VALU_DEP_2)
	v_add_nc_u32_e32 v10, v18, v10
	s_and_not1_b32 exec_lo, exec_lo, s8
	s_cbranch_execnz .LBB4_29
; %bb.30:
	s_or_b32 exec_lo, exec_lo, s8
.LBB4_31:
	s_delay_alu instid0(SALU_CYCLE_1) | instskip(NEXT) | instid1(VALU_DEP_1)
	s_or_b32 exec_lo, exec_lo, s3
	v_and_b32_e32 v1, 7, v1
	s_mov_b32 s8, 0
	s_mov_b32 s3, exec_lo
	s_delay_alu instid0(VALU_DEP_1)
	v_cmpx_ne_u32_e32 0, v1
	s_cbranch_execz .LBB4_35
; %bb.32:
	v_lshlrev_b32_e32 v3, 2, v5
.LBB4_33:                               ; =>This Inner Loop Header: Depth=1
	ds_load_b128 v[12:15], v3
	v_dual_add_nc_u32 v1, -1, v1 :: v_dual_add_nc_u32 v3, 16, v3
	s_delay_alu instid0(VALU_DEP_1)
	v_cmp_eq_u32_e32 vcc_lo, 0, v1
	s_or_b32 s8, vcc_lo, s8
	s_wait_dscnt 0x0
	v_dual_add_nc_u32 v9, v13, v9 :: v_dual_add_nc_u32 v8, v12, v8
	v_dual_add_nc_u32 v11, v15, v11 :: v_dual_add_nc_u32 v10, v14, v10
	s_and_not1_b32 exec_lo, exec_lo, s8
	s_cbranch_execnz .LBB4_33
; %bb.34:
	s_or_b32 exec_lo, exec_lo, s8
.LBB4_35:
	s_delay_alu instid0(SALU_CYCLE_1) | instskip(SKIP_2) | instid1(VALU_DEP_2)
	s_or_b32 exec_lo, exec_lo, s3
	v_and_b32_e32 v1, 0xfc, v0
	v_add_nc_u32_e32 v3, v11, v9
	v_cmp_ne_u32_e32 vcc_lo, v0, v1
	s_delay_alu instid0(VALU_DEP_2)
	v_add3_u32 v8, v10, v8, v3
	s_or_not1_b32 s3, vcc_lo, exec_lo
.LBB4_36:
	s_or_b32 exec_lo, exec_lo, s1
	s_and_saveexec_b32 s1, s3
	s_cbranch_execz .LBB4_40
; %bb.37:
	v_dual_sub_nc_u32 v3, v0, v1 :: v_dual_lshlrev_b32 v1, 2, v1
	s_mov_b32 s3, 0
.LBB4_38:                               ; =>This Inner Loop Header: Depth=1
	ds_load_b32 v5, v1
	v_dual_add_nc_u32 v3, -1, v3 :: v_dual_add_nc_u32 v1, 4, v1
	s_delay_alu instid0(VALU_DEP_1)
	v_cmp_eq_u32_e32 vcc_lo, 0, v3
	s_or_b32 s3, vcc_lo, s3
	s_wait_dscnt 0x0
	v_add_nc_u32_e32 v8, v5, v8
	s_and_not1_b32 exec_lo, exec_lo, s3
	s_cbranch_execnz .LBB4_38
; %bb.39:
	s_or_b32 exec_lo, exec_lo, s3
.LBB4_40:
	s_delay_alu instid0(SALU_CYCLE_1)
	s_or_b32 exec_lo, exec_lo, s1
.LBB4_41:
	s_delay_alu instid0(SALU_CYCLE_1)
	s_or_b32 exec_lo, exec_lo, s0
	s_mov_b32 s1, 0
	s_mov_b32 s0, exec_lo
	v_cmpx_lt_i32_e32 0, v4
	s_cbranch_execz .LBB4_44
; %bb.42:
	s_add_nc_u64 s[8:9], s[16:17], s[40:41]
	v_dual_ashrrev_i32 v9, 31, v8 :: v_dual_mov_b32 v1, v4
	s_add_nc_u64 s[8:9], s[8:9], s[28:29]
	s_delay_alu instid0(SALU_CYCLE_1) | instskip(NEXT) | instid1(VALU_DEP_1)
	s_add_nc_u64 s[8:9], s[8:9], s[30:31]
	v_lshl_add_u64 v[10:11], v[8:9], 2, s[46:47]
	v_lshl_add_u64 v[6:7], v[6:7], 2, s[8:9]
	s_delay_alu instid0(VALU_DEP_1)
	v_add_nc_u64_e32 v[6:7], 8, v[6:7]
.LBB4_43:                               ; =>This Inner Loop Header: Depth=1
	global_load_b32 v3, v[6:7], off
	v_add_nc_u32_e32 v1, -1, v1
	s_wait_xcnt 0x0
	v_add_nc_u64_e32 v[6:7], 4, v[6:7]
	s_wait_loadcnt 0x0
	v_add_nc_u32_e32 v3, 1, v3
	v_cmp_eq_u32_e32 vcc_lo, 0, v1
	global_store_b32 v[10:11], v3, off
	s_wait_xcnt 0x0
	v_add_nc_u64_e32 v[10:11], 4, v[10:11]
	s_or_b32 s1, vcc_lo, s1
	s_delay_alu instid0(SALU_CYCLE_1)
	s_and_not1_b32 exec_lo, exec_lo, s1
	s_cbranch_execnz .LBB4_43
.LBB4_44:
	s_or_b32 exec_lo, exec_lo, s0
	v_cmp_eq_u32_e64 s0, 0xff, v0
	s_and_saveexec_b32 s1, s0
	s_cbranch_execz .LBB4_46
; %bb.45:
	v_dual_add_nc_u32 v1, v8, v4 :: v_dual_mov_b32 v3, s21
	v_mov_b32_e32 v4, 0
	s_clause 0x2
	global_store_b32 v1, v3, s[46:47] scale_offset
	global_store_b32 v4, v4, s[46:47]
	global_store_b32 v4, v1, s[38:39] offset:4
.LBB4_46:
	s_wait_xcnt 0x0
	s_or_b32 exec_lo, exec_lo, s1
	v_mov_b32_e32 v3, 0
	v_bfrev_b32_e32 v1, -2
	s_mov_b32 s3, exec_lo
	s_wait_storecnt 0x0
	s_barrier_signal -1
	s_barrier_wait -1
	v_cmpx_gt_i32_e64 s48, v0
	s_cbranch_execz .LBB4_50
; %bb.47:
	s_add_co_i32 s1, s33, 2
	v_dual_mov_b32 v3, 0 :: v_dual_mov_b32 v6, v0
	s_mul_i32 s8, s26, s1
	v_bfrev_b32_e32 v1, -2
	s_ashr_i32 s9, s8, 31
	s_delay_alu instid0(SALU_CYCLE_1) | instskip(NEXT) | instid1(SALU_CYCLE_1)
	s_lshl_b64 s[8:9], s[8:9], 2
	s_add_nc_u64 s[8:9], s[18:19], s[8:9]
	s_delay_alu instid0(SALU_CYCLE_1) | instskip(SKIP_1) | instid1(VALU_DEP_1)
	v_add_nc_u64_e32 v[4:5], s[8:9], v[2:3]
	s_mov_b32 s8, 0
	v_add_nc_u64_e32 v[4:5], 12, v[4:5]
.LBB4_48:                               ; =>This Inner Loop Header: Depth=1
	global_load_b32 v7, v[4:5], off
	v_cmp_eq_u32_e32 vcc_lo, 0x7fffffff, v1
	v_add_nc_u32_e32 v8, 1, v6
	s_wait_xcnt 0x0
	v_add_nc_u64_e32 v[4:5], 0x400, v[4:5]
	s_wait_loadcnt 0x0
	v_cmp_lt_f32_e64 s9, v3, |v7|
	s_or_b32 vcc_lo, s9, vcc_lo
	v_dual_cndmask_b32 v1, v1, v8 :: v_dual_add_nc_u32 v6, 0x100, v6
	v_cndmask_b32_e64 v3, v3, |v7|, vcc_lo
	s_delay_alu instid0(VALU_DEP_2) | instskip(SKIP_1) | instid1(SALU_CYCLE_1)
	v_cmp_le_i32_e64 s1, s48, v6
	s_or_b32 s8, s1, s8
	s_and_not1_b32 exec_lo, exec_lo, s8
	s_cbranch_execnz .LBB4_48
; %bb.49:
	s_or_b32 exec_lo, exec_lo, s8
.LBB4_50:
	s_delay_alu instid0(SALU_CYCLE_1)
	s_or_b32 exec_lo, exec_lo, s3
	s_cmp_lt_i32 s21, 3
	ds_store_b32 v2, v3 offset:1024
	ds_store_b32 v2, v1
	s_wait_dscnt 0x0
	s_barrier_signal -1
	s_barrier_wait -1
	s_cbranch_scc1 .LBB4_87
; %bb.51:
	v_or_b32_e32 v4, 0x400, v2
	s_mov_b32 s3, exec_lo
	v_cmpx_gt_u32_e32 0x80, v0
	s_cbranch_execz .LBB4_57
; %bb.52:
	ds_load_b32 v5, v4 offset:512
	ds_load_b32 v6, v2 offset:512
	s_mov_b32 s9, exec_lo
	s_wait_dscnt 0x1
	v_cmp_lt_f32_e64 s8, v3, v5
	v_cmpx_nlt_f32_e32 v3, v5
	s_cbranch_execz .LBB4_54
; %bb.53:
	v_cmp_eq_f32_e32 vcc_lo, v3, v5
	s_wait_dscnt 0x0
	v_cmp_gt_i32_e64 s1, v1, v6
	s_and_not1_b32 s8, s8, exec_lo
	s_and_b32 s1, vcc_lo, s1
	s_delay_alu instid0(SALU_CYCLE_1) | instskip(NEXT) | instid1(SALU_CYCLE_1)
	s_and_b32 s1, s1, exec_lo
	s_or_b32 s8, s8, s1
.LBB4_54:
	s_or_b32 exec_lo, exec_lo, s9
	s_and_saveexec_b32 s1, s8
	s_cbranch_execz .LBB4_56
; %bb.55:
	s_wait_dscnt 0x0
	v_dual_mov_b32 v1, v6 :: v_dual_mov_b32 v3, v5
	ds_store_b32 v4, v5
	ds_store_b32 v2, v6
.LBB4_56:
	s_or_b32 exec_lo, exec_lo, s1
.LBB4_57:
	s_delay_alu instid0(SALU_CYCLE_1) | instskip(NEXT) | instid1(SALU_CYCLE_1)
	s_or_b32 exec_lo, exec_lo, s3
	s_mov_b32 s3, exec_lo
	s_wait_dscnt 0x0
	s_barrier_signal -1
	s_barrier_wait -1
	v_cmpx_gt_u32_e32 64, v0
	s_cbranch_execz .LBB4_63
; %bb.58:
	ds_load_b32 v5, v4 offset:256
	ds_load_b32 v6, v2 offset:256
	s_mov_b32 s9, exec_lo
	s_wait_dscnt 0x1
	v_cmp_lt_f32_e64 s8, v3, v5
	v_cmpx_nlt_f32_e32 v3, v5
	s_cbranch_execz .LBB4_60
; %bb.59:
	v_cmp_eq_f32_e32 vcc_lo, v3, v5
	s_wait_dscnt 0x0
	v_cmp_gt_i32_e64 s1, v1, v6
	s_and_not1_b32 s8, s8, exec_lo
	s_and_b32 s1, vcc_lo, s1
	s_delay_alu instid0(SALU_CYCLE_1) | instskip(NEXT) | instid1(SALU_CYCLE_1)
	s_and_b32 s1, s1, exec_lo
	s_or_b32 s8, s8, s1
.LBB4_60:
	s_or_b32 exec_lo, exec_lo, s9
	s_and_saveexec_b32 s1, s8
	s_cbranch_execz .LBB4_62
; %bb.61:
	s_wait_dscnt 0x0
	v_dual_mov_b32 v1, v6 :: v_dual_mov_b32 v3, v5
	ds_store_b32 v4, v5
	ds_store_b32 v2, v6
.LBB4_62:
	s_or_b32 exec_lo, exec_lo, s1
.LBB4_63:
	s_delay_alu instid0(SALU_CYCLE_1) | instskip(NEXT) | instid1(SALU_CYCLE_1)
	s_or_b32 exec_lo, exec_lo, s3
	s_mov_b32 s8, exec_lo
	s_wait_dscnt 0x0
	s_barrier_signal -1
	s_barrier_wait -1
	v_cmpx_gt_u32_e32 32, v0
	s_cbranch_execz .LBB4_86
; %bb.64:
	ds_load_b32 v5, v4 offset:128
	ds_load_b32 v6, v2 offset:128
	s_mov_b32 s9, exec_lo
	s_wait_dscnt 0x1
	v_cmp_lt_f32_e64 s3, v3, v5
	v_cmpx_nlt_f32_e32 v3, v5
	s_cbranch_execz .LBB4_66
; %bb.65:
	v_cmp_eq_f32_e32 vcc_lo, v3, v5
	s_wait_dscnt 0x0
	v_cmp_gt_i32_e64 s1, v1, v6
	s_and_not1_b32 s3, s3, exec_lo
	s_and_b32 s1, vcc_lo, s1
	s_delay_alu instid0(SALU_CYCLE_1) | instskip(NEXT) | instid1(SALU_CYCLE_1)
	s_and_b32 s1, s1, exec_lo
	s_or_b32 s3, s3, s1
.LBB4_66:
	s_or_b32 exec_lo, exec_lo, s9
	s_and_saveexec_b32 s1, s3
	s_cbranch_execz .LBB4_68
; %bb.67:
	s_wait_dscnt 0x0
	v_dual_mov_b32 v3, v5 :: v_dual_mov_b32 v1, v6
	ds_store_b32 v4, v5
	ds_store_b32 v2, v6
.LBB4_68:
	s_or_b32 exec_lo, exec_lo, s1
	ds_load_b32 v5, v4 offset:64
	s_wait_dscnt 0x1
	ds_load_b32 v6, v2 offset:64
	s_mov_b32 s9, exec_lo
	s_wait_dscnt 0x1
	v_cmp_lt_f32_e64 s3, v3, v5
	v_cmpx_nlt_f32_e32 v3, v5
	s_cbranch_execz .LBB4_70
; %bb.69:
	v_cmp_eq_f32_e32 vcc_lo, v3, v5
	s_wait_dscnt 0x0
	v_cmp_gt_i32_e64 s1, v1, v6
	s_and_not1_b32 s3, s3, exec_lo
	s_and_b32 s1, vcc_lo, s1
	s_delay_alu instid0(SALU_CYCLE_1) | instskip(NEXT) | instid1(SALU_CYCLE_1)
	s_and_b32 s1, s1, exec_lo
	s_or_b32 s3, s3, s1
.LBB4_70:
	s_or_b32 exec_lo, exec_lo, s9
	s_and_saveexec_b32 s1, s3
	s_cbranch_execz .LBB4_72
; %bb.71:
	s_wait_dscnt 0x0
	v_dual_mov_b32 v3, v5 :: v_dual_mov_b32 v1, v6
	ds_store_b32 v4, v5
	ds_store_b32 v2, v6
.LBB4_72:
	s_or_b32 exec_lo, exec_lo, s1
	ds_load_b32 v5, v4 offset:32
	s_wait_dscnt 0x1
	;; [unrolled: 28-line block ×5, first 2 shown]
	ds_load_b32 v6, v2 offset:4
	s_wait_dscnt 0x1
	v_cmp_eq_f32_e32 vcc_lo, v3, v5
	s_wait_dscnt 0x0
	v_cmp_gt_i32_e64 s1, v1, v6
	v_cmp_lt_f32_e64 s3, v3, v5
	s_and_b32 s1, vcc_lo, s1
	s_delay_alu instid0(SALU_CYCLE_1) | instskip(NEXT) | instid1(SALU_CYCLE_1)
	s_or_b32 s1, s3, s1
	s_and_b32 exec_lo, exec_lo, s1
	s_cbranch_execz .LBB4_86
; %bb.85:
	ds_store_b32 v4, v5
	ds_store_b32 v2, v6
.LBB4_86:
	s_or_b32 exec_lo, exec_lo, s8
.LBB4_87:
	v_dual_mov_b32 v1, 0 :: v_dual_mov_b32 v2, s23
	s_wait_dscnt 0x0
	s_barrier_signal -1
	s_barrier_wait -1
	ds_load_b32 v1, v1 offset:1024
	s_or_b32 s3, s33, 2
	s_mov_b32 s23, -1
	s_mul_i32 s8, s3, s26
	s_delay_alu instid0(SALU_CYCLE_1) | instskip(NEXT) | instid1(SALU_CYCLE_1)
	s_ashr_i32 s9, s8, 31
	s_lshl_b64 s[8:9], s[8:9], 2
	s_delay_alu instid0(SALU_CYCLE_1)
	s_add_nc_u64 s[8:9], s[18:19], s[8:9]
	s_wait_dscnt 0x0
	v_readfirstlane_b32 s1, v1
	v_mov_b32_e32 v1, s22
	s_wait_kmcnt 0x0
	s_mul_f32 s1, s37, s1
	s_delay_alu instid0(SALU_CYCLE_3)
	s_cmp_lt_f32 s1, s37
	s_cselect_b32 s3, s37, s1
	s_and_not1_b32 vcc_lo, exec_lo, s49
	s_cbranch_vccnz .LBB4_135
; %bb.88:
	s_add_nc_u64 s[10:11], s[8:9], s[30:31]
	s_lshl_b64 s[22:23], s[44:45], 2
	s_lshl_b64 s[42:43], s[42:43], 2
	s_add_nc_u64 s[10:11], s[10:11], s[30:31]
	s_add_nc_u64 s[12:13], s[12:13], s[22:23]
	;; [unrolled: 1-line block ×3, first 2 shown]
	s_and_saveexec_b32 s27, s2
	s_cbranch_execz .LBB4_96
; %bb.89:
	v_mov_b32_e32 v5, 0
	s_cmp_gt_i32 s21, 1
	s_clause 0x1
	global_load_b32 v2, v5, s[12:13]
	global_load_b32 v1, v5, s[4:5]
	s_cselect_b32 s35, -1, 0
	s_cmp_lt_i32 s21, 2
	s_wait_loadcnt 0x1
	v_and_b32_e32 v3, 0x7fffffff, v2
	s_wait_loadcnt 0x0
	s_delay_alu instid0(VALU_DEP_1) | instskip(NEXT) | instid1(VALU_DEP_1)
	v_sub_f32_e32 v2, v1, v3
	v_sub_f32_e32 v6, v1, v2
	s_delay_alu instid0(VALU_DEP_1)
	v_cmp_ge_f32_e32 vcc_lo, s3, v6
	v_cndmask_b32_e64 v4, 0, 1, vcc_lo
	s_cbranch_scc1 .LBB4_92
; %bb.90:
	s_xor_b32 s37, s3, 0x80000000
	s_add_co_i32 s22, s33, 2
	v_cmp_lt_f32_e64 s1, s37, v6
	s_mul_i32 s22, s26, s22
	s_mov_b32 s44, s48
	s_ashr_i32 s23, s22, 31
	s_delay_alu instid0(SALU_CYCLE_1)
	s_lshl_b64 s[22:23], s[22:23], 2
	s_and_b32 s1, vcc_lo, s1
	s_add_nc_u64 s[42:43], s[18:19], s[22:23]
	v_cndmask_b32_e64 v6, v6, s37, s1
	s_add_nc_u64 s[22:23], s[4:5], 4
	s_add_nc_u64 s[42:43], s[42:43], 12
.LBB4_91:                               ; =>This Inner Loop Header: Depth=1
	s_clause 0x1
	global_load_b32 v7, v5, s[42:43]
	global_load_b32 v8, v5, s[22:23]
	s_add_co_i32 s44, s44, -1
	s_wait_xcnt 0x1
	s_add_nc_u64 s[42:43], s[42:43], 4
	s_wait_xcnt 0x0
	s_add_nc_u64 s[22:23], s[22:23], 4
	s_wait_loadcnt 0x1
	v_div_scale_f32 v9, null, v6, v6, v7
	v_div_scale_f32 v12, vcc_lo, v7, v6, v7
	s_wait_loadcnt 0x0
	v_sub_f32_e32 v8, v8, v2
	s_delay_alu instid0(VALU_DEP_3)
	v_rcp_f32_e32 v10, v9
	v_nop
	v_xor_b32_e32 v9, 0x80000000, v9
	s_delay_alu instid0(TRANS32_DEP_1) | instid1(VALU_DEP_1)
	v_fma_f32 v11, v9, v10, 1.0
	s_delay_alu instid0(VALU_DEP_1) | instskip(NEXT) | instid1(VALU_DEP_1)
	v_fmac_f32_e32 v10, v11, v10
	v_mul_f32_e32 v11, v12, v10
	s_delay_alu instid0(VALU_DEP_1) | instskip(NEXT) | instid1(VALU_DEP_1)
	v_fma_f32 v13, v9, v11, v12
	v_fmac_f32_e32 v11, v13, v10
	s_delay_alu instid0(VALU_DEP_1) | instskip(NEXT) | instid1(VALU_DEP_1)
	v_fmac_f32_e32 v12, v9, v11
	v_div_fmas_f32 v9, v12, v10, v11
	s_delay_alu instid0(VALU_DEP_1) | instskip(NEXT) | instid1(VALU_DEP_1)
	v_div_fixup_f32 v6, v9, v6, v7
	v_sub_f32_e32 v6, v8, v6
	s_delay_alu instid0(VALU_DEP_1)
	v_cmp_ge_f32_e32 vcc_lo, s3, v6
	v_cmp_lt_f32_e64 s1, s37, v6
	v_add_co_ci_u32_e64 v4, null, 0, v4, vcc_lo
	s_and_b32 s1, vcc_lo, s1
	s_cmp_lg_u32 s44, 0
	v_cndmask_b32_e64 v6, v6, s37, s1
	s_cbranch_scc1 .LBB4_91
.LBB4_92:
	v_add_f32_e32 v3, v1, v3
	s_and_not1_b32 vcc_lo, exec_lo, s35
	s_delay_alu instid0(VALU_DEP_1) | instskip(NEXT) | instid1(VALU_DEP_1)
	v_sub_f32_e32 v6, v1, v3
	v_cmp_ge_f32_e64 s1, s3, v6
	s_delay_alu instid0(VALU_DEP_1)
	v_cndmask_b32_e64 v5, 0, 1, s1
	s_cbranch_vccnz .LBB4_95
; %bb.93:
	s_xor_b32 s35, s3, 0x80000000
	s_add_co_i32 s22, s33, 2
	v_cmp_lt_f32_e32 vcc_lo, s35, v6
	s_mul_i32 s22, s26, s22
	v_mov_b32_e32 v1, 0
	s_ashr_i32 s23, s22, 31
	s_add_nc_u64 s[42:43], s[4:5], 4
	s_and_b32 s1, s1, vcc_lo
	s_lshl_b64 s[22:23], s[22:23], 2
	v_cndmask_b32_e64 v6, v6, s35, s1
	s_add_nc_u64 s[22:23], s[18:19], s[22:23]
	s_mov_b32 s37, s48
	s_add_nc_u64 s[22:23], s[22:23], 12
.LBB4_94:                               ; =>This Inner Loop Header: Depth=1
	s_clause 0x1
	global_load_b32 v7, v1, s[22:23]
	global_load_b32 v8, v1, s[42:43]
	s_add_co_i32 s37, s37, -1
	s_wait_xcnt 0x1
	s_add_nc_u64 s[22:23], s[22:23], 4
	s_wait_xcnt 0x0
	s_add_nc_u64 s[42:43], s[42:43], 4
	s_wait_loadcnt 0x1
	v_div_scale_f32 v9, null, v6, v6, v7
	v_div_scale_f32 v12, vcc_lo, v7, v6, v7
	s_wait_loadcnt 0x0
	v_sub_f32_e32 v8, v8, v3
	s_delay_alu instid0(VALU_DEP_3)
	v_rcp_f32_e32 v10, v9
	v_nop
	v_xor_b32_e32 v9, 0x80000000, v9
	s_delay_alu instid0(TRANS32_DEP_1) | instid1(VALU_DEP_1)
	v_fma_f32 v11, v9, v10, 1.0
	s_delay_alu instid0(VALU_DEP_1) | instskip(NEXT) | instid1(VALU_DEP_1)
	v_fmac_f32_e32 v10, v11, v10
	v_mul_f32_e32 v11, v12, v10
	s_delay_alu instid0(VALU_DEP_1) | instskip(NEXT) | instid1(VALU_DEP_1)
	v_fma_f32 v13, v9, v11, v12
	v_fmac_f32_e32 v11, v13, v10
	s_delay_alu instid0(VALU_DEP_1) | instskip(NEXT) | instid1(VALU_DEP_1)
	v_fmac_f32_e32 v12, v9, v11
	v_div_fmas_f32 v9, v12, v10, v11
	s_delay_alu instid0(VALU_DEP_1) | instskip(NEXT) | instid1(VALU_DEP_1)
	v_div_fixup_f32 v6, v9, v6, v7
	v_sub_f32_e32 v6, v8, v6
	s_delay_alu instid0(VALU_DEP_1)
	v_cmp_ge_f32_e32 vcc_lo, s3, v6
	v_cmp_lt_f32_e64 s1, s35, v6
	v_add_co_ci_u32_e64 v5, null, 0, v5, vcc_lo
	s_and_b32 s1, vcc_lo, s1
	s_cmp_lg_u32 s37, 0
	v_cndmask_b32_e64 v6, v6, s35, s1
	s_cbranch_scc1 .LBB4_94
.LBB4_95:
	v_mov_b32_e32 v1, 0
	s_clause 0x1
	global_store_b64 v1, v[2:3], s[10:11] offset:8
	global_store_b64 v1, v[4:5], s[38:39] offset:8
.LBB4_96:
	s_wait_xcnt 0x0
	s_or_b32 exec_lo, exec_lo, s27
	v_add_nc_u32_e32 v0, 1, v0
	s_mov_b32 s1, exec_lo
	s_delay_alu instid0(VALU_DEP_1)
	v_cmpx_gt_i32_e64 s48, v0
	s_cbranch_execz .LBB4_103
; %bb.97:
	s_add_co_i32 s22, s33, 2
	v_mov_b32_e32 v1, 0
	s_mul_i32 s22, s26, s22
	s_mov_b32 s27, 0
	s_ashr_i32 s23, s22, 31
	s_delay_alu instid0(SALU_CYCLE_1) | instskip(NEXT) | instid1(SALU_CYCLE_1)
	s_lshl_b64 s[22:23], s[22:23], 2
	s_add_nc_u64 s[42:43], s[18:19], s[22:23]
	s_add_nc_u64 s[22:23], s[4:5], 4
	s_add_nc_u64 s[42:43], s[42:43], 12
.LBB4_98:                               ; =>This Loop Header: Depth=1
                                        ;     Child Loop BB4_99 Depth 2
                                        ;     Child Loop BB4_101 Depth 2
	v_lshl_add_u64 v[6:7], v[0:1], 2, s[12:13]
	s_mov_b64 s[44:45], s[22:23]
	s_mov_b64 s[46:47], s[42:43]
	global_load_b64 v[8:9], v[6:7], off offset:-4
	s_clause 0x1
	global_load_b32 v3, v0, s[4:5] scale_offset
	global_load_b32 v5, v1, s[4:5]
	s_wait_loadcnt 0x2
	s_wait_xcnt 0x2
	v_add_f32_e64 v6, |v9|, |v8|
	s_wait_loadcnt 0x1
	s_delay_alu instid0(VALU_DEP_1) | instskip(SKIP_1) | instid1(VALU_DEP_1)
	v_sub_f32_e32 v2, v3, v6
	s_wait_loadcnt 0x0
	v_sub_f32_e32 v7, v5, v2
	s_delay_alu instid0(VALU_DEP_1)
	v_cmp_gt_f32_e64 s35, v7, -s3
	v_cmp_ge_f32_e32 vcc_lo, s3, v7
	s_and_b32 s35, vcc_lo, s35
	v_cndmask_b32_e64 v4, 0, 1, vcc_lo
	v_cndmask_b32_e64 v7, v7, -s3, s35
	s_mov_b32 s35, 1
.LBB4_99:                               ;   Parent Loop BB4_98 Depth=1
                                        ; =>  This Inner Loop Header: Depth=2
	s_clause 0x1
	global_load_b32 v8, v1, s[46:47]
	global_load_b32 v9, v1, s[44:45]
	s_add_co_i32 s35, s35, 1
	s_wait_xcnt 0x1
	s_add_nc_u64 s[46:47], s[46:47], 4
	s_wait_xcnt 0x0
	s_add_nc_u64 s[44:45], s[44:45], 4
	s_wait_loadcnt 0x1
	v_div_scale_f32 v10, null, v7, v7, v8
	v_div_scale_f32 v13, vcc_lo, v8, v7, v8
	s_wait_loadcnt 0x0
	v_sub_f32_e32 v9, v9, v2
	s_delay_alu instid0(VALU_DEP_3) | instskip(SKIP_1) | instid1(TRANS32_DEP_1)
	v_rcp_f32_e32 v11, v10
	v_nop
	v_fma_f32 v12, -v10, v11, 1.0
	s_delay_alu instid0(VALU_DEP_1) | instskip(NEXT) | instid1(VALU_DEP_1)
	v_fmac_f32_e32 v11, v12, v11
	v_mul_f32_e32 v12, v13, v11
	s_delay_alu instid0(VALU_DEP_1) | instskip(NEXT) | instid1(VALU_DEP_1)
	v_fma_f32 v14, -v10, v12, v13
	v_fmac_f32_e32 v12, v14, v11
	s_delay_alu instid0(VALU_DEP_1) | instskip(NEXT) | instid1(VALU_DEP_1)
	v_fma_f32 v10, -v10, v12, v13
	v_div_fmas_f32 v10, v10, v11, v12
	s_delay_alu instid0(VALU_DEP_1) | instskip(NEXT) | instid1(VALU_DEP_1)
	v_div_fixup_f32 v7, v10, v7, v8
	v_sub_f32_e32 v7, v9, v7
	s_delay_alu instid0(VALU_DEP_1)
	v_cmp_ge_f32_e32 vcc_lo, s3, v7
	v_cmp_gt_f32_e64 s37, v7, -s3
	v_add_co_ci_u32_e64 v4, null, 0, v4, vcc_lo
	s_and_b32 s37, vcc_lo, s37
	s_cmp_lg_u32 s21, s35
	v_cndmask_b32_e64 v7, v7, -s3, s37
	s_cbranch_scc1 .LBB4_99
; %bb.100:                              ;   in Loop: Header=BB4_98 Depth=1
	v_add_f32_e32 v3, v3, v6
	s_mov_b64 s[44:45], s[22:23]
	s_mov_b64 s[46:47], s[42:43]
	s_delay_alu instid0(VALU_DEP_1) | instskip(NEXT) | instid1(VALU_DEP_1)
	v_sub_f32_e32 v6, v5, v3
	v_cmp_gt_f32_e64 s35, v6, -s3
	v_cmp_ge_f32_e32 vcc_lo, s3, v6
	s_and_b32 s35, vcc_lo, s35
	v_cndmask_b32_e64 v5, 0, 1, vcc_lo
	v_cndmask_b32_e64 v6, v6, -s3, s35
	s_mov_b32 s35, s48
.LBB4_101:                              ;   Parent Loop BB4_98 Depth=1
                                        ; =>  This Inner Loop Header: Depth=2
	s_clause 0x1
	global_load_b32 v7, v1, s[46:47]
	global_load_b32 v8, v1, s[44:45]
	s_add_co_i32 s35, s35, -1
	s_wait_xcnt 0x1
	s_add_nc_u64 s[46:47], s[46:47], 4
	s_wait_xcnt 0x0
	s_add_nc_u64 s[44:45], s[44:45], 4
	s_wait_loadcnt 0x1
	v_div_scale_f32 v9, null, v6, v6, v7
	v_div_scale_f32 v12, vcc_lo, v7, v6, v7
	s_wait_loadcnt 0x0
	v_sub_f32_e32 v8, v8, v3
	s_delay_alu instid0(VALU_DEP_3) | instskip(SKIP_1) | instid1(TRANS32_DEP_1)
	v_rcp_f32_e32 v10, v9
	v_nop
	v_fma_f32 v11, -v9, v10, 1.0
	s_delay_alu instid0(VALU_DEP_1) | instskip(NEXT) | instid1(VALU_DEP_1)
	v_fmac_f32_e32 v10, v11, v10
	v_mul_f32_e32 v11, v12, v10
	s_delay_alu instid0(VALU_DEP_1) | instskip(NEXT) | instid1(VALU_DEP_1)
	v_fma_f32 v13, -v9, v11, v12
	v_fmac_f32_e32 v11, v13, v10
	s_delay_alu instid0(VALU_DEP_1) | instskip(NEXT) | instid1(VALU_DEP_1)
	v_fma_f32 v9, -v9, v11, v12
	v_div_fmas_f32 v9, v9, v10, v11
	s_delay_alu instid0(VALU_DEP_1) | instskip(NEXT) | instid1(VALU_DEP_1)
	v_div_fixup_f32 v6, v9, v6, v7
	v_sub_f32_e32 v6, v8, v6
	s_delay_alu instid0(VALU_DEP_1)
	v_cmp_ge_f32_e32 vcc_lo, s3, v6
	v_cmp_gt_f32_e64 s37, v6, -s3
	v_add_co_ci_u32_e64 v5, null, 0, v5, vcc_lo
	s_and_b32 s37, vcc_lo, s37
	s_cmp_lg_u32 s35, 0
	v_cndmask_b32_e64 v6, v6, -s3, s37
	s_cbranch_scc1 .LBB4_101
; %bb.102:                              ;   in Loop: Header=BB4_98 Depth=1
	v_dual_mov_b32 v7, v1 :: v_dual_lshlrev_b32 v6, 1, v0
	v_add_nc_u32_e32 v0, 0x100, v0
	s_delay_alu instid0(VALU_DEP_2) | instskip(NEXT) | instid1(VALU_DEP_2)
	v_lshlrev_b64_e32 v[6:7], 2, v[6:7]
	v_cmp_le_i32_e32 vcc_lo, s48, v0
	s_or_b32 s27, vcc_lo, s27
	s_delay_alu instid0(VALU_DEP_2)
	v_add_nc_u64_e32 v[8:9], s[10:11], v[6:7]
	v_add_nc_u64_e32 v[6:7], s[38:39], v[6:7]
	global_store_b64 v[8:9], v[2:3], off offset:8
	global_store_b64 v[6:7], v[4:5], off offset:8
	s_wait_xcnt 0x0
	s_and_not1_b32 exec_lo, exec_lo, s27
	s_cbranch_execnz .LBB4_98
.LBB4_103:
	s_or_b32 exec_lo, exec_lo, s1
	s_and_saveexec_b32 s1, s0
	s_cbranch_execz .LBB4_111
; %bb.104:
	v_mov_b32_e32 v5, 0
	s_add_nc_u64 s[12:13], s[12:13], s[30:31]
	s_cmp_gt_i32 s21, 1
	s_cselect_b32 s27, -1, 0
	global_load_b32 v0, v5, s[12:13] offset:-8
	s_wait_xcnt 0x0
	s_add_nc_u64 s[12:13], s[4:5], s[30:31]
	s_clause 0x1
	global_load_b32 v1, v5, s[12:13] offset:-4
	global_load_b32 v3, v5, s[4:5]
	s_cmp_lt_i32 s21, 2
	s_wait_loadcnt 0x2
	v_and_b32_e32 v4, 0x7fffffff, v0
	s_wait_loadcnt 0x1
	s_delay_alu instid0(VALU_DEP_1) | instskip(SKIP_1) | instid1(VALU_DEP_1)
	v_sub_f32_e32 v0, v1, v4
	s_wait_loadcnt 0x0
	v_sub_f32_e32 v6, v3, v0
	s_delay_alu instid0(VALU_DEP_1)
	v_cmp_ge_f32_e32 vcc_lo, s3, v6
	v_cndmask_b32_e64 v2, 0, 1, vcc_lo
	s_cbranch_scc1 .LBB4_107
; %bb.105:
	s_xor_b32 s35, s3, 0x80000000
	s_wait_xcnt 0x1
	s_add_co_i32 s12, s33, 2
	v_cmp_lt_f32_e64 s0, s35, v6
	s_mul_i32 s12, s26, s12
	s_mov_b32 s37, s48
	s_ashr_i32 s13, s12, 31
	s_delay_alu instid0(SALU_CYCLE_1)
	s_lshl_b64 s[12:13], s[12:13], 2
	s_and_b32 s0, vcc_lo, s0
	s_add_nc_u64 s[22:23], s[18:19], s[12:13]
	v_cndmask_b32_e64 v6, v6, s35, s0
	s_add_nc_u64 s[12:13], s[4:5], 4
	s_add_nc_u64 s[22:23], s[22:23], 12
.LBB4_106:                              ; =>This Inner Loop Header: Depth=1
	s_clause 0x1
	global_load_b32 v7, v5, s[22:23]
	global_load_b32 v8, v5, s[12:13]
	s_add_co_i32 s37, s37, -1
	s_wait_xcnt 0x1
	s_add_nc_u64 s[22:23], s[22:23], 4
	s_wait_xcnt 0x0
	s_add_nc_u64 s[12:13], s[12:13], 4
	s_wait_loadcnt 0x1
	v_div_scale_f32 v9, null, v6, v6, v7
	v_div_scale_f32 v12, vcc_lo, v7, v6, v7
	s_wait_loadcnt 0x0
	v_sub_f32_e32 v8, v8, v0
	s_delay_alu instid0(VALU_DEP_3)
	v_rcp_f32_e32 v10, v9
	v_nop
	v_xor_b32_e32 v9, 0x80000000, v9
	s_delay_alu instid0(TRANS32_DEP_1) | instid1(VALU_DEP_1)
	v_fma_f32 v11, v9, v10, 1.0
	s_delay_alu instid0(VALU_DEP_1) | instskip(NEXT) | instid1(VALU_DEP_1)
	v_fmac_f32_e32 v10, v11, v10
	v_mul_f32_e32 v11, v12, v10
	s_delay_alu instid0(VALU_DEP_1) | instskip(NEXT) | instid1(VALU_DEP_1)
	v_fma_f32 v13, v9, v11, v12
	v_fmac_f32_e32 v11, v13, v10
	s_delay_alu instid0(VALU_DEP_1) | instskip(NEXT) | instid1(VALU_DEP_1)
	v_fmac_f32_e32 v12, v9, v11
	v_div_fmas_f32 v9, v12, v10, v11
	s_delay_alu instid0(VALU_DEP_1) | instskip(NEXT) | instid1(VALU_DEP_1)
	v_div_fixup_f32 v6, v9, v6, v7
	v_sub_f32_e32 v6, v8, v6
	s_delay_alu instid0(VALU_DEP_1)
	v_cmp_ge_f32_e32 vcc_lo, s3, v6
	v_cmp_lt_f32_e64 s0, s35, v6
	v_add_co_ci_u32_e64 v2, null, 0, v2, vcc_lo
	s_and_b32 s0, vcc_lo, s0
	s_cmp_lg_u32 s37, 0
	v_cndmask_b32_e64 v6, v6, s35, s0
	s_cbranch_scc1 .LBB4_106
.LBB4_107:
	v_add_f32_e32 v1, v1, v4
	s_and_not1_b32 vcc_lo, exec_lo, s27
	s_delay_alu instid0(VALU_DEP_1) | instskip(NEXT) | instid1(VALU_DEP_1)
	v_sub_f32_e32 v4, v3, v1
	v_cmp_ge_f32_e64 s0, s3, v4
	s_delay_alu instid0(VALU_DEP_1)
	v_cndmask_b32_e64 v3, 0, 1, s0
	s_cbranch_vccnz .LBB4_110
; %bb.108:
	s_xor_b32 s22, s3, 0x80000000
	s_wait_xcnt 0x1
	s_add_co_i32 s12, s33, 2
	v_cmp_lt_f32_e32 vcc_lo, s22, v4
	s_mul_i32 s12, s26, s12
	s_wait_xcnt 0x0
	s_add_nc_u64 s[4:5], s[4:5], 4
	s_ashr_i32 s13, s12, 31
	s_delay_alu instid0(SALU_CYCLE_1)
	s_lshl_b64 s[12:13], s[12:13], 2
	s_and_b32 s0, s0, vcc_lo
	s_add_nc_u64 s[12:13], s[18:19], s[12:13]
	v_cndmask_b32_e64 v5, v4, s22, s0
	v_mov_b32_e32 v4, 0
	s_add_nc_u64 s[12:13], s[12:13], 12
.LBB4_109:                              ; =>This Inner Loop Header: Depth=1
	s_clause 0x1
	global_load_b32 v6, v4, s[12:13]
	global_load_b32 v7, v4, s[4:5]
	s_add_co_i32 s48, s48, -1
	s_wait_xcnt 0x1
	s_add_nc_u64 s[12:13], s[12:13], 4
	s_wait_xcnt 0x0
	s_add_nc_u64 s[4:5], s[4:5], 4
	s_wait_loadcnt 0x1
	v_div_scale_f32 v8, null, v5, v5, v6
	v_div_scale_f32 v11, vcc_lo, v6, v5, v6
	s_wait_loadcnt 0x0
	v_sub_f32_e32 v7, v7, v1
	s_delay_alu instid0(VALU_DEP_3)
	v_rcp_f32_e32 v9, v8
	v_nop
	v_xor_b32_e32 v8, 0x80000000, v8
	s_delay_alu instid0(TRANS32_DEP_1) | instid1(VALU_DEP_1)
	v_fma_f32 v10, v8, v9, 1.0
	s_delay_alu instid0(VALU_DEP_1) | instskip(NEXT) | instid1(VALU_DEP_1)
	v_fmac_f32_e32 v9, v10, v9
	v_mul_f32_e32 v10, v11, v9
	s_delay_alu instid0(VALU_DEP_1) | instskip(NEXT) | instid1(VALU_DEP_1)
	v_fma_f32 v12, v8, v10, v11
	v_fmac_f32_e32 v10, v12, v9
	s_delay_alu instid0(VALU_DEP_1) | instskip(NEXT) | instid1(VALU_DEP_1)
	v_fmac_f32_e32 v11, v8, v10
	v_div_fmas_f32 v8, v11, v9, v10
	s_delay_alu instid0(VALU_DEP_1) | instskip(NEXT) | instid1(VALU_DEP_1)
	v_div_fixup_f32 v5, v8, v5, v6
	v_sub_f32_e32 v5, v7, v5
	s_delay_alu instid0(VALU_DEP_1)
	v_cmp_ge_f32_e32 vcc_lo, s3, v5
	v_cmp_lt_f32_e64 s0, s22, v5
	v_add_co_ci_u32_e64 v3, null, 0, v3, vcc_lo
	s_and_b32 s0, vcc_lo, s0
	s_cmp_lg_u32 s48, 0
	v_cndmask_b32_e64 v5, v5, s22, s0
	s_cbranch_scc1 .LBB4_109
.LBB4_110:
	v_mov_b32_e32 v4, 0
	s_wait_xcnt 0x0
	s_add_nc_u64 s[4:5], s[10:11], s[40:41]
	s_clause 0x1
	global_store_b64 v4, v[0:1], s[4:5]
	global_store_b64 v4, v[2:3], s[14:15]
.LBB4_111:
	s_wait_xcnt 0x0
	s_or_b32 exec_lo, exec_lo, s1
	s_mov_b32 s23, 0
	s_wait_storecnt 0x0
	s_barrier_signal -1
	s_barrier_wait -1
                                        ; implicit-def: $vgpr2
                                        ; implicit-def: $vgpr1
	s_and_saveexec_b32 s22, s2
	s_cbranch_execz .LBB4_134
; %bb.112:
	s_cmp_gt_i32 s21, 0
	s_mov_b32 s0, 1
	s_cselect_b32 s23, -1, 0
	s_cmp_lt_i32 s21, 1
	s_cbranch_scc1 .LBB4_119
; %bb.113:
	s_add_co_i32 s33, s33, 2
	s_lshl_b64 s[6:7], s[6:7], 3
	s_mul_i32 s4, s26, s33
	v_mov_b32_e32 v0, 0
	s_ashr_i32 s5, s4, 31
	s_delay_alu instid0(SALU_CYCLE_1) | instskip(NEXT) | instid1(SALU_CYCLE_1)
	s_lshl_b64 s[4:5], s[4:5], 2
	s_add_nc_u64 s[4:5], s[6:7], s[4:5]
	s_delay_alu instid0(SALU_CYCLE_1) | instskip(NEXT) | instid1(SALU_CYCLE_1)
	s_add_nc_u64 s[4:5], s[18:19], s[4:5]
	s_add_nc_u64 s[4:5], s[4:5], 12
	s_branch .LBB4_115
.LBB4_114:                              ;   in Loop: Header=BB4_115 Depth=1
	s_add_co_i32 s0, s0, 1
	s_add_nc_u64 s[4:5], s[4:5], 4
	s_cmp_lg_u32 s0, s34
	s_cbranch_scc0 .LBB4_119
.LBB4_115:                              ; =>This Loop Header: Depth=1
                                        ;     Child Loop BB4_116 Depth 2
	s_add_co_i32 s18, s0, -1
	s_wait_xcnt 0x2
	v_dual_mov_b32 v1, s0 :: v_dual_mov_b32 v2, s18
	s_ashr_i32 s1, s0, 31
	s_mov_b64 s[14:15], s[4:5]
	s_wait_xcnt 0x0
	s_lshl_b64 s[12:13], s[0:1], 2
	global_load_b32 v1, v1, s[10:11] offset:4 scale_offset
	s_add_nc_u64 s[6:7], s[10:11], s[12:13]
	s_mov_b32 s1, s0
	s_wait_loadcnt 0x0
	v_mov_b32_e32 v3, v1
.LBB4_116:                              ;   Parent Loop BB4_115 Depth=1
                                        ; =>  This Inner Loop Header: Depth=2
	global_load_b32 v4, v0, s[14:15]
	s_wait_xcnt 0x0
	s_add_nc_u64 s[14:15], s[14:15], 4
	s_wait_loadcnt 0x0
	v_cmp_lt_f32_e32 vcc_lo, v4, v3
	v_cndmask_b32_e32 v3, v3, v4, vcc_lo
	v_cndmask_b32_e64 v2, v2, s1, vcc_lo
	s_add_co_i32 s1, s1, 1
	s_delay_alu instid0(SALU_CYCLE_1)
	s_cmp_eq_u32 s34, s1
	s_cbranch_scc0 .LBB4_116
; %bb.117:                              ;   in Loop: Header=BB4_115 Depth=1
	s_delay_alu instid0(VALU_DEP_1)
	v_cmp_ne_u32_e32 vcc_lo, s18, v2
	s_cbranch_vccz .LBB4_114
; %bb.118:                              ;   in Loop: Header=BB4_115 Depth=1
	s_add_nc_u64 s[12:13], s[38:39], s[12:13]
	s_clause 0x2
	global_load_b32 v4, v0, s[12:13] offset:4
	global_load_b32 v5, v2, s[38:39] offset:8 scale_offset
	global_store_b32 v2, v1, s[10:11] offset:8 scale_offset
	s_wait_loadcnt 0x1
	global_store_b32 v2, v4, s[38:39] offset:8 scale_offset
	global_store_b32 v0, v3, s[6:7] offset:4
	s_wait_loadcnt 0x0
	global_store_b32 v0, v5, s[12:13] offset:4
	s_branch .LBB4_114
.LBB4_119:
	s_wait_xcnt 0x3
	v_mov_b32_e32 v1, 0
	s_add_nc_u64 s[0:1], s[10:11], s[40:41]
	s_cvt_f32_i32 s4, s21
	s_clause 0x1
	global_load_b32 v2, v1, s[10:11] offset:8
	global_load_b32 v3, v1, s[0:1] offset:4
	s_wait_loadcnt 0x1
	s_wait_xcnt 0x2
	v_and_b32_e32 v0, 0x7fffffff, v2
	s_wait_loadcnt 0x0
	v_and_b32_e32 v4, 0x7fffffff, v3
	s_delay_alu instid0(VALU_DEP_1) | instskip(SKIP_2) | instid1(VALU_DEP_1)
	v_cmp_lt_f32_e32 vcc_lo, v0, v4
	v_cndmask_b32_e32 v0, v2, v3, vcc_lo
	s_and_not1_b32 vcc_lo, exec_lo, s23
	v_and_b32_e32 v0, 0x7fffffff, v0
	s_delay_alu instid0(VALU_DEP_1) | instskip(SKIP_1) | instid1(VALU_DEP_2)
	v_mul_f32_e32 v4, s36, v0
	v_cndmask_b32_e64 v0, 0, 1, s23
	v_xor_b32_e32 v5, 0x80000000, v4
	s_delay_alu instid0(VALU_DEP_1) | instskip(NEXT) | instid1(VALU_DEP_1)
	v_dual_fmac_f32 v2, s4, v5 :: v_dual_fmac_f32 v3, s4, v4
	v_dual_subrev_f32 v2, s3, v2 :: v_dual_add_f32 v3, s3, v3
	s_clause 0x1
	global_store_b32 v1, v2, s[10:11] offset:8
	global_store_b32 v1, v3, s[0:1] offset:4
	s_cbranch_vccnz .LBB4_125
; %bb.120:
	s_wait_xcnt 0x0
	s_add_nc_u64 s[0:1], s[30:31], s[28:29]
	s_max_i32 s5, s34, 2
	s_add_nc_u64 s[0:1], s[16:17], s[0:1]
	s_add_co_i32 s5, s5, -1
	s_add_nc_u64 s[0:1], s[0:1], 12
	s_mov_b32 s6, 0
	s_branch .LBB4_122
.LBB4_121:                              ;   in Loop: Header=BB4_122 Depth=1
	s_add_co_i32 s6, s6, 1
	s_wait_xcnt 0x0
	s_add_nc_u64 s[0:1], s[0:1], 4
	s_cmp_eq_u32 s5, s6
	s_mov_b32 s4, s5
	s_cselect_b32 s7, -1, 0
	s_delay_alu instid0(SALU_CYCLE_1)
	s_and_not1_b32 vcc_lo, exec_lo, s7
	s_cbranch_vccz .LBB4_124
.LBB4_122:                              ; =>This Inner Loop Header: Depth=1
	global_load_b32 v2, v1, s[0:1]
	s_wait_loadcnt 0x0
	v_cmp_le_i32_e32 vcc_lo, s24, v2
	s_cbranch_vccz .LBB4_121
; %bb.123:
	s_mov_b32 s4, s6
                                        ; implicit-def: $sgpr0_sgpr1
.LBB4_124:
	s_mov_b32 s5, 0
	s_branch .LBB4_126
.LBB4_125:
	s_mov_b64 s[4:5], 0
.LBB4_126:
	s_wait_xcnt 0x1
	v_mov_b32_e32 v2, 0
	s_wait_xcnt 0x0
	s_lshl_b64 s[0:1], s[4:5], 2
	v_cmp_ne_u32_e32 vcc_lo, 1, v0
	s_add_nc_u64 s[0:1], s[10:11], s[0:1]
	global_load_b32 v1, v2, s[0:1] offset:8
	s_wait_xcnt 0x0
	s_mov_b32 s1, 1
	s_cbranch_vccnz .LBB4_132
; %bb.127:
	s_add_nc_u64 s[4:5], s[30:31], s[28:29]
	s_max_i32 s6, s34, 2
	s_add_nc_u64 s[4:5], s[16:17], s[4:5]
	s_add_co_i32 s7, s6, -1
	s_add_nc_u64 s[4:5], s[4:5], 12
	s_branch .LBB4_129
.LBB4_128:
	s_mov_b32 s0, s1
                                        ; implicit-def: $sgpr4_sgpr5
	s_branch .LBB4_131
.LBB4_129:                              ; =>This Inner Loop Header: Depth=1
	global_load_b32 v0, v2, s[4:5]
	s_wait_loadcnt 0x0
	v_cmp_gt_i32_e32 vcc_lo, s25, v0
	s_cbranch_vccz .LBB4_128
; %bb.130:                              ;   in Loop: Header=BB4_129 Depth=1
	s_add_co_i32 s1, s1, 1
	s_wait_xcnt 0x0
	s_add_nc_u64 s[4:5], s[4:5], 4
	s_cmp_eq_u32 s6, s1
	s_mov_b32 s0, s7
	s_cselect_b32 s12, -1, 0
	s_delay_alu instid0(SALU_CYCLE_1)
	s_and_not1_b32 vcc_lo, exec_lo, s12
	s_cbranch_vccnz .LBB4_129
.LBB4_131:
	s_ashr_i32 s1, s0, 31
	s_branch .LBB4_133
.LBB4_132:
	s_mov_b64 s[0:1], 0
.LBB4_133:
	v_mov_b32_e32 v0, 0
	s_lshl_b64 s[0:1], s[0:1], 2
	s_mov_b32 s23, exec_lo
	s_add_nc_u64 s[0:1], s[10:11], s[0:1]
	global_load_b32 v2, v0, s[0:1] offset:8
.LBB4_134:
	s_wait_xcnt 0x0
	s_or_b32 exec_lo, exec_lo, s22
.LBB4_135:
	s_and_saveexec_b32 s0, s23
	s_cbranch_execz .LBB4_138
; %bb.136:
	s_and_b32 exec_lo, exec_lo, s2
	s_cbranch_execz .LBB4_138
; %bb.137:
	s_cmp_eq_u32 s20, 0xe7
	v_dual_mov_b32 v4, s3 :: v_dual_mov_b32 v0, 0
	s_cselect_b32 s0, -1, 0
	s_wait_loadcnt 0x0
	v_cndmask_b32_e64 v3, v2, 0, s0
	v_cndmask_b32_e64 v2, v1, 0, s0
	global_store_b96 v0, v[2:4], s[8:9]
.LBB4_138:
	s_endpgm
	.section	.rodata,"a",@progbits
	.p2align	6, 0x0
	.amdhsa_kernel _ZN9rocsolver6v33100L19stedcx_split_kernelIfEEv15rocblas_erange_iT_S3_iiPS3_lS4_lS4_lPiS4_S3_S3_
		.amdhsa_group_segment_fixed_size 2048
		.amdhsa_private_segment_fixed_size 0
		.amdhsa_kernarg_size 352
		.amdhsa_user_sgpr_count 2
		.amdhsa_user_sgpr_dispatch_ptr 0
		.amdhsa_user_sgpr_queue_ptr 0
		.amdhsa_user_sgpr_kernarg_segment_ptr 1
		.amdhsa_user_sgpr_dispatch_id 0
		.amdhsa_user_sgpr_kernarg_preload_length 0
		.amdhsa_user_sgpr_kernarg_preload_offset 0
		.amdhsa_user_sgpr_private_segment_size 0
		.amdhsa_wavefront_size32 1
		.amdhsa_uses_dynamic_stack 0
		.amdhsa_enable_private_segment 0
		.amdhsa_system_sgpr_workgroup_id_x 1
		.amdhsa_system_sgpr_workgroup_id_y 1
		.amdhsa_system_sgpr_workgroup_id_z 0
		.amdhsa_system_sgpr_workgroup_info 0
		.amdhsa_system_vgpr_workitem_id 0
		.amdhsa_next_free_vgpr 32
		.amdhsa_next_free_sgpr 56
		.amdhsa_named_barrier_count 0
		.amdhsa_reserve_vcc 1
		.amdhsa_float_round_mode_32 0
		.amdhsa_float_round_mode_16_64 0
		.amdhsa_float_denorm_mode_32 3
		.amdhsa_float_denorm_mode_16_64 3
		.amdhsa_fp16_overflow 0
		.amdhsa_memory_ordered 1
		.amdhsa_forward_progress 1
		.amdhsa_inst_pref_size 56
		.amdhsa_round_robin_scheduling 0
		.amdhsa_exception_fp_ieee_invalid_op 0
		.amdhsa_exception_fp_denorm_src 0
		.amdhsa_exception_fp_ieee_div_zero 0
		.amdhsa_exception_fp_ieee_overflow 0
		.amdhsa_exception_fp_ieee_underflow 0
		.amdhsa_exception_fp_ieee_inexact 0
		.amdhsa_exception_int_div_zero 0
	.end_amdhsa_kernel
	.section	.text._ZN9rocsolver6v33100L19stedcx_split_kernelIfEEv15rocblas_erange_iT_S3_iiPS3_lS4_lS4_lPiS4_S3_S3_,"axG",@progbits,_ZN9rocsolver6v33100L19stedcx_split_kernelIfEEv15rocblas_erange_iT_S3_iiPS3_lS4_lS4_lPiS4_S3_S3_,comdat
.Lfunc_end4:
	.size	_ZN9rocsolver6v33100L19stedcx_split_kernelIfEEv15rocblas_erange_iT_S3_iiPS3_lS4_lS4_lPiS4_S3_S3_, .Lfunc_end4-_ZN9rocsolver6v33100L19stedcx_split_kernelIfEEv15rocblas_erange_iT_S3_iiPS3_lS4_lS4_lPiS4_S3_S3_
                                        ; -- End function
	.set _ZN9rocsolver6v33100L19stedcx_split_kernelIfEEv15rocblas_erange_iT_S3_iiPS3_lS4_lS4_lPiS4_S3_S3_.num_vgpr, 32
	.set _ZN9rocsolver6v33100L19stedcx_split_kernelIfEEv15rocblas_erange_iT_S3_iiPS3_lS4_lS4_lPiS4_S3_S3_.num_agpr, 0
	.set _ZN9rocsolver6v33100L19stedcx_split_kernelIfEEv15rocblas_erange_iT_S3_iiPS3_lS4_lS4_lPiS4_S3_S3_.numbered_sgpr, 56
	.set _ZN9rocsolver6v33100L19stedcx_split_kernelIfEEv15rocblas_erange_iT_S3_iiPS3_lS4_lS4_lPiS4_S3_S3_.num_named_barrier, 0
	.set _ZN9rocsolver6v33100L19stedcx_split_kernelIfEEv15rocblas_erange_iT_S3_iiPS3_lS4_lS4_lPiS4_S3_S3_.private_seg_size, 0
	.set _ZN9rocsolver6v33100L19stedcx_split_kernelIfEEv15rocblas_erange_iT_S3_iiPS3_lS4_lS4_lPiS4_S3_S3_.uses_vcc, 1
	.set _ZN9rocsolver6v33100L19stedcx_split_kernelIfEEv15rocblas_erange_iT_S3_iiPS3_lS4_lS4_lPiS4_S3_S3_.uses_flat_scratch, 0
	.set _ZN9rocsolver6v33100L19stedcx_split_kernelIfEEv15rocblas_erange_iT_S3_iiPS3_lS4_lS4_lPiS4_S3_S3_.has_dyn_sized_stack, 0
	.set _ZN9rocsolver6v33100L19stedcx_split_kernelIfEEv15rocblas_erange_iT_S3_iiPS3_lS4_lS4_lPiS4_S3_S3_.has_recursion, 0
	.set _ZN9rocsolver6v33100L19stedcx_split_kernelIfEEv15rocblas_erange_iT_S3_iiPS3_lS4_lS4_lPiS4_S3_S3_.has_indirect_call, 0
	.section	.AMDGPU.csdata,"",@progbits
; Kernel info:
; codeLenInByte = 7056
; TotalNumSgprs: 58
; NumVgprs: 32
; ScratchSize: 0
; MemoryBound: 0
; FloatMode: 240
; IeeeMode: 1
; LDSByteSize: 2048 bytes/workgroup (compile time only)
; SGPRBlocks: 0
; VGPRBlocks: 1
; NumSGPRsForWavesPerEU: 58
; NumVGPRsForWavesPerEU: 32
; NamedBarCnt: 0
; Occupancy: 16
; WaveLimiterHint : 0
; COMPUTE_PGM_RSRC2:SCRATCH_EN: 0
; COMPUTE_PGM_RSRC2:USER_SGPR: 2
; COMPUTE_PGM_RSRC2:TRAP_HANDLER: 0
; COMPUTE_PGM_RSRC2:TGID_X_EN: 1
; COMPUTE_PGM_RSRC2:TGID_Y_EN: 1
; COMPUTE_PGM_RSRC2:TGID_Z_EN: 0
; COMPUTE_PGM_RSRC2:TIDIG_COMP_CNT: 0
	.section	.text._ZN9rocsolver6v33100L20stedcx_divide_kernelIfEEviPT_lS3_lPi,"axG",@progbits,_ZN9rocsolver6v33100L20stedcx_divide_kernelIfEEviPT_lS3_lPi,comdat
	.globl	_ZN9rocsolver6v33100L20stedcx_divide_kernelIfEEviPT_lS3_lPi ; -- Begin function _ZN9rocsolver6v33100L20stedcx_divide_kernelIfEEviPT_lS3_lPi
	.p2align	8
	.type	_ZN9rocsolver6v33100L20stedcx_divide_kernelIfEEviPT_lS3_lPi,@function
_ZN9rocsolver6v33100L20stedcx_divide_kernelIfEEviPT_lS3_lPi: ; @_ZN9rocsolver6v33100L20stedcx_divide_kernelIfEEviPT_lS3_lPi
; %bb.0:
	s_clause 0x1
	s_load_b32 s8, s[0:1], 0x0
	s_load_b64 s[10:11], s[0:1], 0x28
	s_bfe_u32 s2, ttmp6, 0x4000c
	s_and_b32 s3, ttmp6, 15
	s_add_co_i32 s2, s2, 1
	s_getreg_b32 s4, hwreg(HW_REG_IB_STS2, 6, 4)
	s_mul_i32 s2, ttmp9, s2
	s_mov_b32 s7, 0
	s_add_co_i32 s3, s3, s2
	s_mov_b32 s6, exec_lo
	s_wait_kmcnt 0x0
	s_ashr_i32 s9, s8, 31
	s_cmp_eq_u32 s4, 0
	s_mul_i32 s2, s8, 5
	s_cselect_b32 s14, ttmp9, s3
	s_add_co_i32 s2, s2, 2
	s_lshl_b64 s[16:17], s[8:9], 2
	s_mul_i32 s2, s2, s14
	s_delay_alu instid0(SALU_CYCLE_1) | instskip(NEXT) | instid1(SALU_CYCLE_1)
	s_ashr_i32 s3, s2, 31
	s_lshl_b64 s[12:13], s[2:3], 2
	s_delay_alu instid0(SALU_CYCLE_1) | instskip(NEXT) | instid1(SALU_CYCLE_1)
	s_add_nc_u64 s[2:3], s[10:11], s[12:13]
	s_add_nc_u64 s[4:5], s[2:3], s[16:17]
	s_load_b32 s18, s[4:5], 0x4
	s_wait_kmcnt 0x0
	v_cmpx_gt_i32_e64 s18, v0
	s_cbranch_execz .LBB5_21
; %bb.1:
	s_load_b256 s[20:27], s[0:1], 0x8
	s_wait_xcnt 0x0
	s_add_nc_u64 s[0:1], s[4:5], s[16:17]
	s_add_nc_u64 s[16:17], s[16:17], s[12:13]
	s_lshl_b64 s[8:9], s[8:9], 3
	s_ashr_i32 s15, s14, 31
	s_add_nc_u64 s[16:17], s[10:11], s[16:17]
	s_add_nc_u64 s[12:13], s[8:9], s[12:13]
	;; [unrolled: 1-line block ×5, first 2 shown]
	v_mov_b32_e32 v1, 0
	s_add_nc_u64 s[12:13], s[12:13], 12
	s_mov_b32 s19, 0
	s_wait_kmcnt 0x0
	s_mul_u64 s[16:17], s[22:23], s[14:15]
	s_mul_u64 s[14:15], s[26:27], s[14:15]
	s_lshl_b64 s[16:17], s[16:17], 2
	s_lshl_b64 s[22:23], s[14:15], 2
	s_add_nc_u64 s[14:15], s[20:21], s[16:17]
	s_add_nc_u64 s[16:17], s[24:25], s[22:23]
	s_branch .LBB5_3
.LBB5_2:                                ;   in Loop: Header=BB5_3 Depth=1
	s_wait_xcnt 0x0
	s_or_b32 exec_lo, exec_lo, s6
	v_add_nc_u32_e32 v0, 0x200, v0
	s_delay_alu instid0(VALU_DEP_1) | instskip(SKIP_1) | instid1(SALU_CYCLE_1)
	v_cmp_le_i32_e32 vcc_lo, s18, v0
	s_or_b32 s19, vcc_lo, s19
	s_and_not1_b32 exec_lo, exec_lo, s19
	s_cbranch_execz .LBB5_21
.LBB5_3:                                ; =>This Loop Header: Depth=1
                                        ;     Child Loop BB5_13 Depth 2
                                        ;       Child Loop BB5_14 Depth 3
                                        ;     Child Loop BB5_17 Depth 2
	v_lshl_add_u64 v[2:3], v[0:1], 2, s[2:3]
	s_mov_b32 s6, exec_lo
	v_mov_b32_e32 v14, 0
	global_load_b64 v[2:3], v[2:3], off
	s_wait_loadcnt 0x0
	v_sub_nc_u32_e32 v8, v3, v2
	s_wait_xcnt 0x0
	s_delay_alu instid0(VALU_DEP_1)
	v_cmpx_lt_i32_e32 2, v8
	s_cbranch_execz .LBB5_11
; %bb.4:                                ;   in Loop: Header=BB5_3 Depth=1
	v_mov_b32_e32 v14, 1
	s_mov_b32 s20, exec_lo
	v_cmpx_lt_u32_e32 4, v8
	s_cbranch_execz .LBB5_10
; %bb.5:                                ;   in Loop: Header=BB5_3 Depth=1
	v_mov_b32_e32 v14, 2
	s_mov_b32 s21, exec_lo
	v_cmpx_lt_u32_e32 32, v8
	;; [unrolled: 5-line block ×3, first 2 shown]
; %bb.7:                                ;   in Loop: Header=BB5_3 Depth=1
	v_cmp_gt_u32_e32 vcc_lo, 0x128, v8
	v_cndmask_b32_e64 v3, 7, 5, vcc_lo
	v_cmp_gt_u32_e32 vcc_lo, 0x79b, v8
	s_delay_alu instid0(VALU_DEP_2)
	v_cndmask_b32_e32 v14, 8, v3, vcc_lo
; %bb.8:                                ;   in Loop: Header=BB5_3 Depth=1
	s_or_b32 exec_lo, exec_lo, s22
.LBB5_9:                                ;   in Loop: Header=BB5_3 Depth=1
	s_delay_alu instid0(SALU_CYCLE_1)
	s_or_b32 exec_lo, exec_lo, s21
.LBB5_10:                               ;   in Loop: Header=BB5_3 Depth=1
	s_delay_alu instid0(SALU_CYCLE_1)
	s_or_b32 exec_lo, exec_lo, s20
.LBB5_11:                               ;   in Loop: Header=BB5_3 Depth=1
	s_delay_alu instid0(SALU_CYCLE_1) | instskip(SKIP_4) | instid1(VALU_DEP_1)
	s_or_b32 exec_lo, exec_lo, s6
	v_ashrrev_i32_e32 v3, 31, v2
	global_store_b32 v2, v8, s[4:5] offset:8 scale_offset
	s_mov_b32 s6, exec_lo
	v_lshlrev_b64_e32 v[6:7], 2, v[2:3]
	v_add_nc_u64_e32 v[4:5], s[0:1], v[6:7]
	s_wait_xcnt 0x0
	v_cmpx_ne_u32_e32 0, v14
	s_xor_b32 s20, exec_lo, s6
	s_cbranch_execz .LBB5_19
; %bb.12:                               ;   in Loop: Header=BB5_3 Depth=1
	v_add_nc_u64_e32 v[8:9], s[4:5], v[6:7]
	v_add_nc_u64_e32 v[10:11], s[8:9], v[6:7]
	s_mov_b32 s21, 0
	s_mov_b32 s22, 0
.LBB5_13:                               ;   Parent Loop BB5_3 Depth=1
                                        ; =>  This Loop Header: Depth=2
                                        ;       Child Loop BB5_14 Depth 3
	s_delay_alu instid0(SALU_CYCLE_1)
	s_lshl_b32 s6, 1, s22
	s_delay_alu instid0(VALU_DEP_1) | instid1(SALU_CYCLE_1)
	v_lshl_add_u64 v[12:13], s[6:7], 2, v[10:11]
	s_add_co_i32 s23, s6, 1
	s_lshl_b32 s6, s6, 1
.LBB5_14:                               ;   Parent Loop BB5_3 Depth=1
                                        ;     Parent Loop BB5_13 Depth=2
                                        ; =>    This Inner Loop Header: Depth=3
	global_load_b32 v3, v[12:13], off
	s_wait_xcnt 0x0
	v_add_nc_u64_e32 v[12:13], -4, v[12:13]
	v_lshl_add_u64 v[18:19], s[6:7], 2, v[8:9]
	s_add_co_i32 s23, s23, -1
	s_add_co_i32 s6, s6, -2
	s_cmp_lt_u32 s23, 2
	s_wait_loadcnt 0x0
	v_lshrrev_b32_e32 v15, 31, v3
	s_delay_alu instid0(VALU_DEP_1) | instskip(NEXT) | instid1(VALU_DEP_1)
	v_add_nc_u32_e32 v15, v3, v15
	v_dual_ashrrev_i32 v16, 1, v15 :: v_dual_bitop2_b32 v17, -2, v15 bitop3:0x40
	s_delay_alu instid0(VALU_DEP_1) | instskip(NEXT) | instid1(VALU_DEP_2)
	v_cmp_lt_i32_e32 vcc_lo, v17, v3
	v_add_co_ci_u32_e64 v17, null, 0, v16, vcc_lo
	global_store_b64 v[18:19], v[16:17], off
	s_cbranch_scc0 .LBB5_14
; %bb.15:                               ;   in Loop: Header=BB5_13 Depth=2
	s_add_co_i32 s22, s22, 1
	s_delay_alu instid0(SALU_CYCLE_1)
	v_cmp_eq_u32_e32 vcc_lo, s22, v14
	s_or_b32 s21, vcc_lo, s21
	s_wait_xcnt 0x0
	s_and_not1_b32 exec_lo, exec_lo, s21
	s_cbranch_execnz .LBB5_13
; %bb.16:                               ;   in Loop: Header=BB5_3 Depth=1
	s_or_b32 exec_lo, exec_lo, s21
	v_add_nc_u64_e32 v[8:9], s[12:13], v[6:7]
	v_add_nc_u64_e32 v[6:7], s[10:11], v[6:7]
	s_mov_b32 s21, 2
	s_mov_b32 s6, 0
	global_store_b32 v[4:5], v2, off offset:8
.LBB5_17:                               ;   Parent Loop BB5_3 Depth=1
                                        ; =>  This Inner Loop Header: Depth=2
	global_load_b32 v3, v[6:7], off
	v_lshrrev_b32_e64 v12, v14, s21
	s_wait_xcnt 0x0
	v_add_nc_u64_e32 v[6:7], 4, v[6:7]
	s_add_co_i32 s21, s21, 1
	s_delay_alu instid0(VALU_DEP_2) | instskip(SKIP_3) | instid1(VALU_DEP_1)
	v_cmp_ne_u32_e32 vcc_lo, 0, v12
	s_or_b32 s6, vcc_lo, s6
	s_wait_loadcnt 0x0
	v_add_nc_u32_e32 v2, v3, v2
	v_ashrrev_i32_e32 v3, 31, v2
	s_delay_alu instid0(VALU_DEP_1)
	v_lshl_add_u64 v[4:5], v[2:3], 2, s[14:15]
	global_load_b32 v3, v2, s[16:17] offset:-4 scale_offset
	global_load_b64 v[10:11], v[4:5], off offset:-4
	s_wait_loadcnt 0x0
	v_sub_f32_e32 v10, v10, v3
	global_store_b32 v[8:9], v2, off
	s_wait_xcnt 0x0
	v_add_nc_u64_e32 v[8:9], 4, v[8:9]
	v_sub_f32_e32 v11, v11, v3
	global_store_b64 v[4:5], v[10:11], off offset:-4
	s_wait_xcnt 0x0
	s_and_not1_b32 exec_lo, exec_lo, s6
	s_cbranch_execnz .LBB5_17
; %bb.18:                               ;   in Loop: Header=BB5_3 Depth=1
	s_or_b32 exec_lo, exec_lo, s6
                                        ; implicit-def: $vgpr4_vgpr5
                                        ; implicit-def: $vgpr2_vgpr3
.LBB5_19:                               ;   in Loop: Header=BB5_3 Depth=1
	s_and_not1_saveexec_b32 s6, s20
	s_cbranch_execz .LBB5_2
; %bb.20:                               ;   in Loop: Header=BB5_3 Depth=1
	global_store_b32 v[4:5], v2, off offset:8
	s_branch .LBB5_2
.LBB5_21:
	s_endpgm
	.section	.rodata,"a",@progbits
	.p2align	6, 0x0
	.amdhsa_kernel _ZN9rocsolver6v33100L20stedcx_divide_kernelIfEEviPT_lS3_lPi
		.amdhsa_group_segment_fixed_size 0
		.amdhsa_private_segment_fixed_size 0
		.amdhsa_kernarg_size 48
		.amdhsa_user_sgpr_count 2
		.amdhsa_user_sgpr_dispatch_ptr 0
		.amdhsa_user_sgpr_queue_ptr 0
		.amdhsa_user_sgpr_kernarg_segment_ptr 1
		.amdhsa_user_sgpr_dispatch_id 0
		.amdhsa_user_sgpr_kernarg_preload_length 0
		.amdhsa_user_sgpr_kernarg_preload_offset 0
		.amdhsa_user_sgpr_private_segment_size 0
		.amdhsa_wavefront_size32 1
		.amdhsa_uses_dynamic_stack 0
		.amdhsa_enable_private_segment 0
		.amdhsa_system_sgpr_workgroup_id_x 1
		.amdhsa_system_sgpr_workgroup_id_y 0
		.amdhsa_system_sgpr_workgroup_id_z 0
		.amdhsa_system_sgpr_workgroup_info 0
		.amdhsa_system_vgpr_workitem_id 0
		.amdhsa_next_free_vgpr 20
		.amdhsa_next_free_sgpr 28
		.amdhsa_named_barrier_count 0
		.amdhsa_reserve_vcc 1
		.amdhsa_float_round_mode_32 0
		.amdhsa_float_round_mode_16_64 0
		.amdhsa_float_denorm_mode_32 3
		.amdhsa_float_denorm_mode_16_64 3
		.amdhsa_fp16_overflow 0
		.amdhsa_memory_ordered 1
		.amdhsa_forward_progress 1
		.amdhsa_inst_pref_size 7
		.amdhsa_round_robin_scheduling 0
		.amdhsa_exception_fp_ieee_invalid_op 0
		.amdhsa_exception_fp_denorm_src 0
		.amdhsa_exception_fp_ieee_div_zero 0
		.amdhsa_exception_fp_ieee_overflow 0
		.amdhsa_exception_fp_ieee_underflow 0
		.amdhsa_exception_fp_ieee_inexact 0
		.amdhsa_exception_int_div_zero 0
	.end_amdhsa_kernel
	.section	.text._ZN9rocsolver6v33100L20stedcx_divide_kernelIfEEviPT_lS3_lPi,"axG",@progbits,_ZN9rocsolver6v33100L20stedcx_divide_kernelIfEEviPT_lS3_lPi,comdat
.Lfunc_end5:
	.size	_ZN9rocsolver6v33100L20stedcx_divide_kernelIfEEviPT_lS3_lPi, .Lfunc_end5-_ZN9rocsolver6v33100L20stedcx_divide_kernelIfEEviPT_lS3_lPi
                                        ; -- End function
	.set _ZN9rocsolver6v33100L20stedcx_divide_kernelIfEEviPT_lS3_lPi.num_vgpr, 20
	.set _ZN9rocsolver6v33100L20stedcx_divide_kernelIfEEviPT_lS3_lPi.num_agpr, 0
	.set _ZN9rocsolver6v33100L20stedcx_divide_kernelIfEEviPT_lS3_lPi.numbered_sgpr, 28
	.set _ZN9rocsolver6v33100L20stedcx_divide_kernelIfEEviPT_lS3_lPi.num_named_barrier, 0
	.set _ZN9rocsolver6v33100L20stedcx_divide_kernelIfEEviPT_lS3_lPi.private_seg_size, 0
	.set _ZN9rocsolver6v33100L20stedcx_divide_kernelIfEEviPT_lS3_lPi.uses_vcc, 1
	.set _ZN9rocsolver6v33100L20stedcx_divide_kernelIfEEviPT_lS3_lPi.uses_flat_scratch, 0
	.set _ZN9rocsolver6v33100L20stedcx_divide_kernelIfEEviPT_lS3_lPi.has_dyn_sized_stack, 0
	.set _ZN9rocsolver6v33100L20stedcx_divide_kernelIfEEviPT_lS3_lPi.has_recursion, 0
	.set _ZN9rocsolver6v33100L20stedcx_divide_kernelIfEEviPT_lS3_lPi.has_indirect_call, 0
	.section	.AMDGPU.csdata,"",@progbits
; Kernel info:
; codeLenInByte = 852
; TotalNumSgprs: 30
; NumVgprs: 20
; ScratchSize: 0
; MemoryBound: 0
; FloatMode: 240
; IeeeMode: 1
; LDSByteSize: 0 bytes/workgroup (compile time only)
; SGPRBlocks: 0
; VGPRBlocks: 1
; NumSGPRsForWavesPerEU: 30
; NumVGPRsForWavesPerEU: 20
; NamedBarCnt: 0
; Occupancy: 16
; WaveLimiterHint : 1
; COMPUTE_PGM_RSRC2:SCRATCH_EN: 0
; COMPUTE_PGM_RSRC2:USER_SGPR: 2
; COMPUTE_PGM_RSRC2:TRAP_HANDLER: 0
; COMPUTE_PGM_RSRC2:TGID_X_EN: 1
; COMPUTE_PGM_RSRC2:TGID_Y_EN: 0
; COMPUTE_PGM_RSRC2:TGID_Z_EN: 0
; COMPUTE_PGM_RSRC2:TIDIG_COMP_CNT: 0
	.section	.text._ZN9rocsolver6v33100L19stedcx_solve_kernelIfEEviPT_lS3_lS3_iilPiS3_S4_S2_S2_S2_,"axG",@progbits,_ZN9rocsolver6v33100L19stedcx_solve_kernelIfEEviPT_lS3_lS3_iilPiS3_S4_S2_S2_S2_,comdat
	.globl	_ZN9rocsolver6v33100L19stedcx_solve_kernelIfEEviPT_lS3_lS3_iilPiS3_S4_S2_S2_S2_ ; -- Begin function _ZN9rocsolver6v33100L19stedcx_solve_kernelIfEEviPT_lS3_lS3_iilPiS3_S4_S2_S2_S2_
	.p2align	8
	.type	_ZN9rocsolver6v33100L19stedcx_solve_kernelIfEEviPT_lS3_lS3_iilPiS3_S4_S2_S2_S2_,@function
_ZN9rocsolver6v33100L19stedcx_solve_kernelIfEEviPT_lS3_lS3_iilPiS3_S4_S2_S2_S2_: ; @_ZN9rocsolver6v33100L19stedcx_solve_kernelIfEEviPT_lS3_lS3_iilPiS3_S4_S2_S2_S2_
; %bb.0:
	s_clause 0x1
	s_load_b128 s[20:23], s[0:1], 0x28
	s_load_b256 s[4:11], s[0:1], 0x38
	s_bfe_u32 s2, ttmp6, 0x40014
	s_lshr_b32 s3, ttmp7, 16
	s_add_co_i32 s2, s2, 1
	s_bfe_u32 s12, ttmp6, 0x40008
	s_mul_i32 s2, s3, s2
	s_getreg_b32 s27, hwreg(HW_REG_IB_STS2, 6, 4)
	s_add_co_i32 s12, s12, s2
	s_cmp_eq_u32 s27, 0
	s_cselect_b32 s2, s3, s12
	s_mov_b32 s3, 0
	s_wait_kmcnt 0x0
	s_cmp_lg_u64 s[20:21], 0
	s_cbranch_scc0 .LBB6_249
; %bb.1:
	s_mul_u64 s[4:5], s[4:5], s[2:3]
	s_ashr_i32 s13, s22, 31
	s_lshl_b64 s[4:5], s[4:5], 2
	s_mov_b32 s12, s22
	s_add_nc_u64 s[4:5], s[20:21], s[4:5]
	s_lshl_b64 s[12:13], s[12:13], 2
	s_delay_alu instid0(SALU_CYCLE_1)
	s_add_nc_u64 s[24:25], s[4:5], s[12:13]
	s_and_not1_b32 vcc_lo, exec_lo, s3
	s_cbranch_vccnz .LBB6_3
.LBB6_2:
	s_mov_b32 s3, 0
                                        ; implicit-def: $sgpr24_sgpr25
.LBB6_3:
	s_load_b32 s4, s[0:1], 0x0
	s_bfe_u32 s5, ttmp6, 0x40010
	s_and_b32 s12, ttmp7, 0xffff
	s_add_co_i32 s5, s5, 1
	s_bfe_u32 s13, ttmp6, 0x40004
	s_mul_i32 s5, s12, s5
	s_delay_alu instid0(SALU_CYCLE_1) | instskip(SKIP_4) | instid1(SALU_CYCLE_1)
	s_add_co_i32 s13, s13, s5
	s_cmp_eq_u32 s27, 0
	s_cselect_b32 s26, s12, s13
	s_wait_kmcnt 0x0
	s_mul_i32 s5, s4, 5
	s_add_co_i32 s5, s5, 2
	s_delay_alu instid0(SALU_CYCLE_1)
	s_mul_i32 s12, s5, s2
	s_ashr_i32 s5, s4, 31
	s_ashr_i32 s13, s12, 31
	s_lshl_b64 s[30:31], s[4:5], 2
	s_lshl_b64 s[12:13], s[12:13], 2
	s_mov_b32 s5, 0
	s_add_nc_u64 s[10:11], s[10:11], s[12:13]
	s_delay_alu instid0(SALU_CYCLE_1)
	s_add_nc_u64 s[28:29], s[10:11], s[30:31]
	s_load_b32 s33, s[28:29], 0x4
	s_wait_kmcnt 0x0
	s_cmp_ge_i32 s26, s33
	s_cbranch_scc1 .LBB6_248
; %bb.4:
	s_clause 0x2
	s_load_b256 s[12:19], s[0:1], 0x8
	s_load_b96 s[20:22], s[0:1], 0x58
	s_load_b32 s36, s[0:1], 0x74
	s_lshl_b64 s[34:35], s[2:3], 2
	s_wait_xcnt 0x0
	s_mul_i32 s1, s2, s4
	s_bfe_u32 s37, ttmp6, 0x4000c
	s_add_nc_u64 s[6:7], s[6:7], s[34:35]
	s_lshl_b32 s34, s1, 1
	s_add_co_i32 s37, s37, 1
	s_and_b32 s4, ttmp6, 15
	s_ashr_i32 s35, s34, 31
	s_mul_i32 s1, ttmp9, s37
	v_dual_mov_b32 v3, 0 :: v_dual_lshlrev_b32 v2, 2, v0
	s_lshl_b64 s[34:35], s[34:35], 2
	s_add_co_i32 s4, s4, s1
	v_mov_b64_e32 v[8:9], 0xbf0000003f000000
	v_cmp_eq_u32_e64 s0, 0, v0
	v_add_nc_u64_e32 v[4:5], s[24:25], v[2:3]
	v_mov_b32_e32 v11, 2.0
	s_wait_kmcnt 0x0
	s_mul_u64 s[14:15], s[14:15], s[2:3]
	s_mul_u64 s[2:3], s[18:19], s[2:3]
	s_lshl_b64 s[14:15], s[14:15], 2
	s_lshl_b64 s[2:3], s[2:3], 2
	s_cmp_eq_u32 s27, 0
	s_add_nc_u64 s[16:17], s[16:17], s[2:3]
	s_add_nc_u64 s[12:13], s[12:13], s[14:15]
	s_cselect_b32 s14, ttmp9, s4
	v_add_nc_u64_e32 v[6:7], s[16:17], v[2:3]
	s_ashr_i32 s15, s14, 31
	s_ashr_i32 s19, s23, 31
	s_mov_b32 s18, s23
	s_add_nc_u64 s[30:31], s[28:29], s[30:31]
	s_add_nc_u64 s[8:9], s[8:9], s[34:35]
	s_mul_f32 s94, s20, s20
	s_and_b32 s95, 0xffff, s36
	s_lshl_b64 s[2:3], s[14:15], 2
	s_lshl_b64 s[42:43], s[18:19], 2
	s_add_nc_u64 s[28:29], s[28:29], s[2:3]
	s_add_nc_u64 s[30:31], s[30:31], s[2:3]
	;; [unrolled: 1-line block ×3, first 2 shown]
	s_lshl_b32 s36, s95, 2
	s_mov_b32 s37, s5
	s_add_nc_u64 s[38:39], s[8:9], -8
	s_add_nc_u64 s[40:41], s[8:9], -4
	;; [unrolled: 1-line block ×3, first 2 shown]
	s_sub_nc_u64 s[46:47], 0, s[42:43]
	s_add_nc_u64 s[48:49], s[12:13], -4
                                        ; implicit-def: $vgpr55
                                        ; implicit-def: $vgpr20_vgpr21
                                        ; implicit-def: $vgpr22_vgpr23
                                        ; implicit-def: $vgpr24_vgpr25
                                        ; implicit-def: $vgpr12_vgpr13
                                        ; implicit-def: $vgpr54
                                        ; implicit-def: $vgpr18_vgpr19
                                        ; implicit-def: $vgpr1
                                        ; implicit-def: $vgpr14_vgpr15
                                        ; implicit-def: $vgpr16_vgpr17
	s_branch .LBB6_7
.LBB6_5:                                ;   in Loop: Header=BB6_7 Depth=1
	s_or_b32 exec_lo, exec_lo, s1
	s_wait_storecnt 0x0
	s_barrier_signal -1
	s_barrier_wait -1
.LBB6_6:                                ;   in Loop: Header=BB6_7 Depth=1
	s_add_co_i32 s26, s26, 8
	s_delay_alu instid0(SALU_CYCLE_1)
	s_cmp_ge_i32 s26, s33
	s_cbranch_scc1 .LBB6_248
.LBB6_7:                                ; =>This Loop Header: Depth=1
                                        ;     Child Loop BB6_20 Depth 2
                                        ;       Child Loop BB6_28 Depth 3
                                        ;       Child Loop BB6_42 Depth 3
	;; [unrolled: 1-line block ×6, first 2 shown]
                                        ;         Child Loop BB6_172 Depth 4
                                        ;         Child Loop BB6_192 Depth 4
	;; [unrolled: 1-line block ×3, first 2 shown]
                                        ;           Child Loop BB6_240 Depth 5
                                        ;       Child Loop BB6_87 Depth 3
                                        ;         Child Loop BB6_94 Depth 4
                                        ;         Child Loop BB6_114 Depth 4
                                        ;         Child Loop BB6_161 Depth 4
                                        ;           Child Loop BB6_162 Depth 5
                                        ;       Child Loop BB6_77 Depth 3
                                        ;       Child Loop BB6_84 Depth 3
                                        ;     Child Loop BB6_245 Depth 2
	s_ashr_i32 s27, s26, 31
	s_delay_alu instid0(SALU_CYCLE_1) | instskip(NEXT) | instid1(SALU_CYCLE_1)
	s_lshl_b64 s[2:3], s[26:27], 2
	s_add_nc_u64 s[2:3], s[10:11], s[2:3]
	global_load_b64 v[26:27], v3, s[2:3]
	s_wait_loadcnt 0x0
	v_readfirstlane_b32 s1, v26
	v_readfirstlane_b32 s2, v27
	s_sub_co_i32 s15, s2, s1
	s_mov_b32 s2, 0
	s_cmp_lt_i32 s15, 3
	s_cbranch_scc1 .LBB6_12
; %bb.8:                                ;   in Loop: Header=BB6_7 Depth=1
	s_cmp_lt_u32 s15, 5
	s_mov_b32 s2, 1
	s_cbranch_scc1 .LBB6_12
; %bb.9:                                ;   in Loop: Header=BB6_7 Depth=1
	s_cmp_lt_u32 s15, 33
	s_mov_b32 s2, 2
	s_cbranch_scc1 .LBB6_12
; %bb.10:                               ;   in Loop: Header=BB6_7 Depth=1
	s_cmp_lt_u32 s15, 0xe9
	s_mov_b32 s2, 4
	s_cbranch_scc1 .LBB6_12
; %bb.11:                               ;   in Loop: Header=BB6_7 Depth=1
	s_cmp_lt_u32 s15, 0x128
	s_cselect_b32 s2, 5, 7
	s_cmp_lt_u32 s15, 0x79b
	s_cselect_b32 s2, s2, 8
.LBB6_12:                               ;   in Loop: Header=BB6_7 Depth=1
	s_delay_alu instid0(SALU_CYCLE_1) | instskip(NEXT) | instid1(SALU_CYCLE_1)
	s_lshl_b32 s2, 1, s2
	s_cmp_ge_i32 s14, s2
	s_cbranch_scc1 .LBB6_6
; %bb.13:                               ;   in Loop: Header=BB6_7 Depth=1
	v_mov_b32_e32 v2, s1
	s_clause 0x1
	global_load_b32 v10, v2, s[28:29] offset:8 scale_offset
	global_load_b32 v26, v2, s[30:31] offset:8 scale_offset
	s_wait_loadcnt 0x1
	v_readfirstlane_b32 s54, v10
	s_wait_loadcnt 0x0
	v_readfirstlane_b32 s52, v26
	s_and_saveexec_b32 s1, s0
; %bb.14:                               ;   in Loop: Header=BB6_7 Depth=1
	ds_store_2addr_b32 v3, v3, v3 offset0:3 offset1:7
; %bb.15:                               ;   in Loop: Header=BB6_7 Depth=1
	s_or_b32 exec_lo, exec_lo, s1
	s_wait_dscnt 0x0
	s_barrier_signal -1
	s_barrier_wait -1
	ds_load_2addr_b32 v[26:27], v3 offset0:3 offset1:7
	s_mul_i32 s15, s15, 30
	s_ashr_i32 s53, s52, 31
	s_add_co_i32 s50, s54, -1
	s_wait_dscnt 0x0
	v_cmp_gt_i32_e32 vcc_lo, s54, v26
	v_cmp_gt_i32_e64 s1, s15, v27
	v_readfirstlane_b32 s84, v26
	s_and_b32 s1, vcc_lo, s1
	s_delay_alu instid0(SALU_CYCLE_1)
	s_and_not1_b32 vcc_lo, exec_lo, s1
	s_cbranch_vccnz .LBB6_242
; %bb.16:                               ;   in Loop: Header=BB6_7 Depth=1
	s_mul_i32 s62, s52, s23
	s_lshl_b64 s[56:57], s[52:53], 2
	s_ashr_i32 s63, s62, 31
	s_lshl_b32 s64, s52, 1
	s_lshl_b64 s[72:73], s[62:63], 2
	s_add_nc_u64 s[2:3], s[24:25], s[56:57]
	s_add_nc_u64 s[74:75], s[56:57], s[72:73]
	s_ashr_i32 s65, s64, 31
	s_ashr_i32 s55, s54, 31
	v_add_nc_u64_e32 v[26:27], s[74:75], v[4:5]
	s_lshl_b64 s[78:79], s[64:65], 2
	s_add_nc_u64 s[62:63], s[2:3], s[72:73]
	s_lshl_b64 s[2:3], s[54:55], 2
	v_cmp_gt_i32_e64 s1, s54, v0
	s_add_nc_u64 s[82:83], s[2:3], s[78:79]
	s_add_nc_u64 s[58:59], s[12:13], s[56:57]
	;; [unrolled: 1-line block ×9, first 2 shown]
	s_add_nc_u64 s[76:77], s[2:3], -4
	s_add_nc_u64 s[78:79], s[8:9], s[78:79]
	s_add_nc_u64 s[80:81], s[48:49], s[56:57]
	;; [unrolled: 1-line block ×3, first 2 shown]
	s_branch .LBB6_20
.LBB6_17:                               ;   in Loop: Header=BB6_20 Depth=2
	s_or_b32 exec_lo, exec_lo, s2
.LBB6_18:                               ;   in Loop: Header=BB6_20 Depth=2
	s_wait_storecnt 0x0
	s_barrier_signal -1
	s_barrier_wait -1
.LBB6_19:                               ;   in Loop: Header=BB6_20 Depth=2
	ds_load_2addr_b32 v[28:29], v3 offset0:3 offset1:7
	s_wait_dscnt 0x0
	v_cmp_gt_i32_e32 vcc_lo, s54, v28
	v_cmp_gt_i32_e64 s2, s15, v29
	v_readfirstlane_b32 s84, v28
	s_and_b32 s2, vcc_lo, s2
	s_delay_alu instid0(SALU_CYCLE_1)
	s_and_not1_b32 vcc_lo, exec_lo, s2
	s_cbranch_vccnz .LBB6_242
.LBB6_20:                               ;   Parent Loop BB6_7 Depth=1
                                        ; =>  This Loop Header: Depth=2
                                        ;       Child Loop BB6_28 Depth 3
                                        ;       Child Loop BB6_42 Depth 3
	;; [unrolled: 1-line block ×6, first 2 shown]
                                        ;         Child Loop BB6_172 Depth 4
                                        ;         Child Loop BB6_192 Depth 4
	;; [unrolled: 1-line block ×3, first 2 shown]
                                        ;           Child Loop BB6_240 Depth 5
                                        ;       Child Loop BB6_87 Depth 3
                                        ;         Child Loop BB6_94 Depth 4
                                        ;         Child Loop BB6_114 Depth 4
	;; [unrolled: 1-line block ×3, first 2 shown]
                                        ;           Child Loop BB6_162 Depth 5
                                        ;       Child Loop BB6_77 Depth 3
                                        ;       Child Loop BB6_84 Depth 3
	s_and_saveexec_b32 s4, s0
	s_cbranch_execz .LBB6_50
; %bb.21:                               ;   in Loop: Header=BB6_20 Depth=2
	s_cmp_lt_i32 s84, 1
	s_cbranch_scc1 .LBB6_23
; %bb.22:                               ;   in Loop: Header=BB6_20 Depth=2
	v_mov_b32_e32 v2, s84
	global_store_b32 v2, v3, s[60:61] offset:-4 scale_offset
.LBB6_23:                               ;   in Loop: Header=BB6_20 Depth=2
	s_mov_b32 s2, -1
	s_mov_b32 s88, 0
	s_cmp_lt_i32 s84, s50
	s_mov_b32 s27, 0
	s_cbranch_scc1 .LBB6_25
; %bb.24:                               ;   in Loop: Header=BB6_20 Depth=2
	s_ashr_i32 s85, s84, 31
	s_mov_b32 s2, 0
	s_mov_b32 s27, -1
.LBB6_25:                               ;   in Loop: Header=BB6_20 Depth=2
	s_and_not1_b32 vcc_lo, exec_lo, s2
	s_cbranch_vccnz .LBB6_30
; %bb.26:                               ;   in Loop: Header=BB6_20 Depth=2
	s_ashr_i32 s85, s84, 31
	s_delay_alu instid0(SALU_CYCLE_1)
	s_lshl_b64 s[2:3], s[84:85], 2
	s_mov_b64 s[88:89], s[84:85]
	s_add_nc_u64 s[92:93], s[60:61], s[2:3]
	s_add_nc_u64 s[86:87], s[66:67], s[2:3]
	s_branch .LBB6_28
.LBB6_27:                               ;   in Loop: Header=BB6_28 Depth=3
	s_and_not1_b32 vcc_lo, exec_lo, s96
	s_cbranch_vccz .LBB6_31
.LBB6_28:                               ;   Parent Loop BB6_7 Depth=1
                                        ;     Parent Loop BB6_20 Depth=2
                                        ; =>    This Inner Loop Header: Depth=3
	s_clause 0x1
	global_load_b64 v[20:21], v3, s[86:87] offset:-4
	global_load_b32 v2, v3, s[92:93]
	s_mov_b64 s[2:3], s[92:93]
	s_wait_loadcnt 0x1
	v_readfirstlane_b32 s51, v21
	s_wait_loadcnt 0x0
	v_and_b32_e32 v2, 0x7fffffff, v2
	s_bitset0_b32 s51, 31
	s_delay_alu instid0(SALU_CYCLE_1) | instskip(SKIP_1) | instid1(SALU_CYCLE_2)
	s_mul_f32 s90, s51, 0x4f800000
	s_cmp_lt_f32 s51, 0xf800000
	s_cselect_b32 s90, s90, s51
	s_delay_alu instid0(SALU_CYCLE_1) | instskip(SKIP_2) | instid1(TRANS32_DEP_1)
	v_s_sqrt_f32 s91, s90
	s_wait_xcnt 0x0
	s_mov_b32 s93, s90
	s_add_co_i32 s92, s91, -1
	s_delay_alu instid0(SALU_CYCLE_1) | instskip(NEXT) | instid1(SALU_CYCLE_1)
	s_xor_b32 s96, s92, 0x80000000
	s_fmac_f32 s93, s96, s91
	s_mov_b32 s96, s90
	s_delay_alu instid0(SALU_CYCLE_2) | instskip(SKIP_2) | instid1(SALU_CYCLE_1)
	s_cmp_le_f32 s93, 0
	s_cselect_b32 s92, s92, s91
	s_add_co_i32 s93, s91, 1
	s_xor_b32 s97, s93, 0x80000000
	s_delay_alu instid0(SALU_CYCLE_1) | instskip(SKIP_1) | instid1(SALU_CYCLE_2)
	s_fmac_f32 s96, s97, s91
	v_readfirstlane_b32 s91, v20
	s_cmp_gt_f32 s96, 0
	s_cselect_b32 s92, s93, s92
	s_cmp_lt_f32 s51, 0xf800000
	s_mul_f32 s51, s92, 0x37800000
	s_delay_alu instid0(SALU_CYCLE_3) | instskip(SKIP_1) | instid1(SALU_CYCLE_1)
	s_cselect_b32 s51, s51, s92
	s_bitset0_b32 s91, 31
	s_mul_f32 s92, s91, 0x4f800000
	s_cmp_lt_f32 s91, 0xf800000
	s_delay_alu instid0(SALU_CYCLE_2) | instskip(NEXT) | instid1(SALU_CYCLE_1)
	s_cselect_b32 s92, s92, s91
	v_s_sqrt_f32 s93, s92
	s_mov_b32 s97, s92
	s_delay_alu instid0(TRANS32_DEP_1) | instskip(NEXT) | instid1(SALU_CYCLE_1)
	s_add_co_i32 s96, s93, -1
	s_xor_b32 s98, s96, 0x80000000
	s_delay_alu instid0(SALU_CYCLE_1) | instskip(SKIP_1) | instid1(SALU_CYCLE_2)
	s_fmac_f32 s97, s98, s93
	s_mov_b32 s98, s92
	s_cmp_le_f32 s97, 0
	s_cselect_b32 s96, s96, s93
	s_add_co_i32 s97, s93, 1
	s_delay_alu instid0(SALU_CYCLE_1) | instskip(NEXT) | instid1(SALU_CYCLE_1)
	s_xor_b32 s99, s97, 0x80000000
	s_fmac_f32 s98, s99, s93
	v_cmp_class_f32_e64 s93, s92, 0x260
	s_delay_alu instid0(SALU_CYCLE_2) | instskip(SKIP_4) | instid1(SALU_CYCLE_2)
	s_cmp_gt_f32 s98, 0
	s_cselect_b32 s96, s97, s96
	s_cmp_lt_f32 s91, 0xf800000
	s_mul_f32 s91, s96, 0x37800000
	v_cmp_class_f32_e64 s97, s90, 0x260
	s_cselect_b32 s91, s91, s96
	s_and_b32 s93, s93, exec_lo
	s_cselect_b32 s91, s92, s91
	s_and_b32 s92, s97, exec_lo
	s_cselect_b32 s51, s90, s51
	s_mov_b32 s96, -1
	s_mul_f32 s51, s91, s51
	s_mov_b64 s[90:91], s[88:89]
                                        ; implicit-def: $sgpr88_sgpr89
                                        ; implicit-def: $sgpr92_sgpr93
	s_delay_alu instid0(SALU_CYCLE_2) | instskip(NEXT) | instid1(SALU_CYCLE_3)
	s_mul_f32 s51, s20, s51
	v_cmp_nge_f32_e32 vcc_lo, s51, v2
	s_mov_b32 s51, -1
	s_cbranch_vccz .LBB6_27
; %bb.29:                               ;   in Loop: Header=BB6_28 Depth=3
	s_add_nc_u64 s[88:89], s[90:91], 1
	s_add_nc_u64 s[92:93], s[2:3], 4
	s_cmp_ge_i32 s88, s50
	s_add_nc_u64 s[86:87], s[86:87], 4
	s_mov_b32 s51, 0
	s_cselect_b32 s96, -1, 0
	s_branch .LBB6_27
.LBB6_30:                               ;   in Loop: Header=BB6_20 Depth=2
	s_mov_b32 s2, s84
	s_mov_b64 s[86:87], s[84:85]
	s_and_b32 vcc_lo, exec_lo, s27
	s_cbranch_vccnz .LBB6_34
	s_branch .LBB6_35
.LBB6_31:                               ;   in Loop: Header=BB6_20 Depth=2
	s_xor_b32 s51, s51, -1
	s_mov_b32 s88, -1
	s_and_b32 vcc_lo, exec_lo, s51
                                        ; implicit-def: $sgpr86_sgpr87
	s_cbranch_vccz .LBB6_33
; %bb.32:                               ;   in Loop: Header=BB6_20 Depth=2
	s_ashr_i32 s51, s50, 31
	s_mov_b32 s27, -1
	s_mov_b32 s88, 0
	s_mov_b64 s[86:87], s[50:51]
.LBB6_33:                               ;   in Loop: Header=BB6_20 Depth=2
	v_mov_b64_e32 v[20:21], s[90:91]
	v_mov_b64_e32 v[22:23], s[2:3]
	;; [unrolled: 1-line block ×3, first 2 shown]
	v_mov_b32_e32 v55, s90
	s_mov_b32 s2, s50
	s_and_b32 vcc_lo, exec_lo, s27
	s_cbranch_vccz .LBB6_35
.LBB6_34:                               ;   in Loop: Header=BB6_20 Depth=2
	s_wait_xcnt 0x0
	v_mov_b32_e32 v2, s2
	ds_store_b32 v3, v2 offset:4
.LBB6_35:                               ;   in Loop: Header=BB6_20 Depth=2
	v_mov_b64_e32 v[28:29], s[84:85]
	v_mov_b64_e32 v[30:31], s[86:87]
	s_wait_xcnt 0x0
	v_mov_b32_e32 v2, s2
	s_and_not1_b32 vcc_lo, exec_lo, s88
	s_cbranch_vccnz .LBB6_37
; %bb.36:                               ;   in Loop: Header=BB6_20 Depth=2
	v_mov_b64_e32 v[28:29], v[24:25]
	v_mov_b64_e32 v[30:31], v[20:21]
	v_mov_b32_e32 v2, v55
	ds_store_b32 v3, v55 offset:4
	global_store_b32 v[22:23], v3, off
.LBB6_37:                               ;   in Loop: Header=BB6_20 Depth=2
	s_delay_alu instid0(VALU_DEP_2)
	v_lshl_add_u64 v[30:31], v[30:31], 2, s[58:59]
	v_lshl_add_u64 v[28:29], v[28:29], 2, s[58:59]
	s_mov_b32 s2, exec_lo
	s_clause 0x1
	global_load_b32 v10, v[30:31], off
	global_load_b32 v28, v[28:29], off
	s_wait_xcnt 0x0
	v_dual_mov_b32 v29, s84 :: v_dual_add_nc_u32 v30, 1, v2
	v_mov_b32_e32 v31, s84
	ds_store_2addr_b32 v3, v29, v2 offset1:5
	ds_store_b32 v3, v2 offset:32
	ds_store_2addr_b32 v3, v30, v31 offset0:3 offset1:4
	s_wait_loadcnt 0x0
	v_cmpx_lt_f32_e64 |v10|, |v28|
; %bb.38:                               ;   in Loop: Header=BB6_20 Depth=2
	v_mov_b32_e32 v28, s84
	ds_store_2addr_b32 v3, v2, v28 offset1:5
; %bb.39:                               ;   in Loop: Header=BB6_20 Depth=2
	s_or_b32 exec_lo, exec_lo, s2
	v_and_b32_e32 v10, 0x7fffffff, v10
	s_mov_b32 s3, exec_lo
	v_cmpx_lt_i32_e64 s84, v2
	s_cbranch_execz .LBB6_49
; %bb.40:                               ;   in Loop: Header=BB6_20 Depth=2
	v_subrev_nc_u32_e32 v29, s84, v2
	v_mov_b32_e32 v28, s84
	s_mov_b32 s51, -1
	s_mov_b32 s27, exec_lo
	s_delay_alu instid0(VALU_DEP_2)
	v_cmpx_lt_u32_e32 1, v29
	s_cbranch_execz .LBB6_44
; %bb.41:                               ;   in Loop: Header=BB6_20 Depth=2
	v_dual_mov_b32 v33, v10 :: v_dual_bitop2_b32 v28, -2, v29 bitop3:0x40
	s_mov_b32 s85, 0
	s_mov_b32 s2, 0
                                        ; implicit-def: $sgpr51
	s_delay_alu instid0(VALU_DEP_1)
	v_add_nc_u32_e32 v30, -2, v28
.LBB6_42:                               ;   Parent Loop BB6_7 Depth=1
                                        ;     Parent Loop BB6_20 Depth=2
                                        ; =>    This Inner Loop Header: Depth=3
	s_add_co_i32 s86, s84, s2
	v_dual_mov_b32 v32, v33 :: v_dual_mov_b32 v31, v10
	s_ashr_i32 s87, s86, 31
	s_delay_alu instid0(VALU_DEP_2) | instskip(SKIP_1) | instid1(VALU_DEP_2)
	v_cmp_eq_u32_e32 vcc_lo, s2, v30
	s_lshl_b64 s[86:87], s[86:87], 2
	v_dual_mov_b32 v34, s2 :: v_dual_max_num_f32 v10, v32, v32
	s_add_nc_u64 s[88:89], s[60:61], s[86:87]
	s_add_nc_u64 s[86:87], s[58:59], s[86:87]
	s_clause 0x1
	global_load_b64 v[36:37], v3, s[88:89]
	global_load_b64 v[38:39], v3, s[86:87]
	s_wait_xcnt 0x0
	s_add_co_i32 s86, s2, 2
	s_wait_loadcnt 0x1
	v_max_num_f32_e64 v33, |v37|, |v37|
	s_wait_loadcnt 0x0
	v_max_num_f32_e64 v37, |v39|, |v39|
	v_max_num_f32_e32 v35, v31, v31
	v_max_num_f32_e64 v36, |v36|, |v36|
	v_max_num_f32_e64 v38, |v38|, |v38|
	s_delay_alu instid0(VALU_DEP_1) | instskip(NEXT) | instid1(VALU_DEP_1)
	v_dual_max_num_f32 v33, v37, v33 :: v_dual_max_num_f32 v36, v38, v36
	v_cmp_u_f32_e64 s2, v33, v33
	s_delay_alu instid0(VALU_DEP_2) | instskip(NEXT) | instid1(VALU_DEP_2)
	v_dual_max_num_f32 v33, v10, v33 :: v_dual_max_num_f32 v10, v35, v36
	v_cndmask_b32_e64 v37, 0, 1, s2
	v_cmp_u_f32_e64 s2, v36, v36
	s_delay_alu instid0(VALU_DEP_1) | instskip(NEXT) | instid1(VALU_DEP_3)
	v_cndmask_b32_e64 v38, 0, 1, s2
	v_readfirstlane_b32 s2, v37
	s_delay_alu instid0(VALU_DEP_2) | instskip(SKIP_1) | instid1(SALU_CYCLE_1)
	v_readfirstlane_b32 s87, v38
	s_lshl_b32 s2, s2, 1
	s_or_b32 s2, s87, s2
	s_delay_alu instid0(SALU_CYCLE_1) | instskip(NEXT) | instid1(SALU_CYCLE_1)
	s_and_b32 s2, s2, 3
	s_cmp_lg_u32 s2, 0
	s_cselect_b32 s2, -1, 0
	s_delay_alu instid0(SALU_CYCLE_1) | instskip(NEXT) | instid1(SALU_CYCLE_1)
	s_or_b32 s87, s2, vcc_lo
	s_and_b32 s87, exec_lo, s87
	s_delay_alu instid0(SALU_CYCLE_1)
	s_or_b32 s85, s87, s85
	s_and_not1_b32 s51, s51, exec_lo
	s_and_b32 s87, s2, exec_lo
	s_mov_b32 s2, s86
	s_or_b32 s51, s51, s87
	s_and_not1_b32 exec_lo, exec_lo, s85
	s_cbranch_execnz .LBB6_42
; %bb.43:                               ;   in Loop: Header=BB6_20 Depth=2
	s_or_b32 exec_lo, exec_lo, s85
	v_dual_cndmask_b32 v30, v33, v32, s51 :: v_dual_cndmask_b32 v10, v10, v31, s51
	v_cndmask_b32_e64 v31, v28, v34, s51
	v_cmp_ne_u32_e32 vcc_lo, v29, v28
	s_delay_alu instid0(VALU_DEP_3) | instskip(NEXT) | instid1(VALU_DEP_3)
	v_max_num_f32_e32 v30, v30, v30
	v_dual_max_num_f32 v10, v10, v10 :: v_dual_add_nc_u32 v28, s84, v31
	s_or_b32 s2, vcc_lo, s51
	s_delay_alu instid0(SALU_CYCLE_1) | instskip(NEXT) | instid1(VALU_DEP_1)
	s_or_not1_b32 s51, s2, exec_lo
	v_max_num_f32_e32 v10, v10, v30
.LBB6_44:                               ;   in Loop: Header=BB6_20 Depth=2
	s_or_b32 exec_lo, exec_lo, s27
	s_and_saveexec_b32 s2, s51
	s_cbranch_execz .LBB6_48
; %bb.45:                               ;   in Loop: Header=BB6_20 Depth=2
	v_ashrrev_i32_e32 v29, 31, v28
	s_mov_b32 s27, 0
	s_delay_alu instid0(VALU_DEP_1) | instskip(NEXT) | instid1(VALU_DEP_1)
	v_lshlrev_b64_e32 v[32:33], 2, v[28:29]
	v_add_nc_u64_e32 v[30:31], s[68:69], v[32:33]
	v_add_nc_u64_e32 v[32:33], s[60:61], v[32:33]
.LBB6_46:                               ;   Parent Loop BB6_7 Depth=1
                                        ;     Parent Loop BB6_20 Depth=2
                                        ; =>    This Inner Loop Header: Depth=3
	global_load_b32 v29, v[30:31], off
	global_load_b32 v34, v[32:33], off
	v_add_nc_u32_e32 v28, 1, v28
	s_wait_xcnt 0x1
	v_add_nc_u64_e32 v[30:31], 4, v[30:31]
	s_wait_xcnt 0x0
	v_add_nc_u64_e32 v[32:33], 4, v[32:33]
	v_cmp_ge_i32_e32 vcc_lo, v28, v2
	s_or_b32 s27, vcc_lo, s27
	s_wait_loadcnt 0x0
	v_max3_num_f32 v10, v10, |v29|, |v34|
	s_and_not1_b32 exec_lo, exec_lo, s27
	s_cbranch_execnz .LBB6_46
; %bb.47:                               ;   in Loop: Header=BB6_20 Depth=2
	s_or_b32 exec_lo, exec_lo, s27
.LBB6_48:                               ;   in Loop: Header=BB6_20 Depth=2
	s_delay_alu instid0(SALU_CYCLE_1)
	s_or_b32 exec_lo, exec_lo, s2
.LBB6_49:                               ;   in Loop: Header=BB6_20 Depth=2
	s_delay_alu instid0(SALU_CYCLE_1)
	s_or_b32 exec_lo, exec_lo, s3
	ds_store_b32 v3, v10 offset:24
.LBB6_50:                               ;   in Loop: Header=BB6_20 Depth=2
	s_or_b32 exec_lo, exec_lo, s4
	s_wait_storecnt_dscnt 0x0
	s_barrier_signal -1
	s_barrier_wait -1
	ds_load_2addr_b32 v[28:29], v3 offset0:5 offset1:6
	ds_load_b32 v2, v3
	s_wait_dscnt 0x1
	v_readfirstlane_b32 s2, v29
	v_readfirstlane_b32 s3, v28
	s_cmp_eq_f32 s2, 0
	s_wait_dscnt 0x0
	v_cmp_eq_u32_e32 vcc_lo, s3, v2
	s_cselect_b32 s3, -1, 0
	s_delay_alu instid0(SALU_CYCLE_1) | instskip(NEXT) | instid1(SALU_CYCLE_1)
	s_or_b32 s3, vcc_lo, s3
	s_and_b32 vcc_lo, exec_lo, s3
	s_cbranch_vccnz .LBB6_19
; %bb.51:                               ;   in Loop: Header=BB6_20 Depth=2
	s_cmp_ngt_f32 s2, s22
	s_mov_b32 s3, -1
	s_cbranch_scc0 .LBB6_60
; %bb.52:                               ;   in Loop: Header=BB6_20 Depth=2
	s_cmp_nlt_f32 s2, s21
	s_cbranch_scc1 .LBB6_59
; %bb.53:                               ;   in Loop: Header=BB6_20 Depth=2
	v_div_scale_f32 v2, null, s21, s21, s2
	v_div_scale_f32 v30, vcc_lo, s2, s21, s2
	s_delay_alu instid0(VALU_DEP_2)
	v_rcp_f32_e32 v10, v2
	v_nop
	v_xor_b32_e32 v2, 0x80000000, v2
	s_delay_alu instid0(TRANS32_DEP_1) | instid1(VALU_DEP_1)
	v_fma_f32 v28, v2, v10, 1.0
	s_delay_alu instid0(VALU_DEP_1) | instskip(SKIP_2) | instid1(VALU_DEP_1)
	v_fmac_f32_e32 v10, v28, v10
	ds_load_2addr_b32 v[28:29], v3 offset0:4 offset1:8
	v_mul_f32_e32 v31, v30, v10
	v_fma_f32 v32, v2, v31, v30
	s_delay_alu instid0(VALU_DEP_1) | instskip(NEXT) | instid1(VALU_DEP_1)
	v_fmac_f32_e32 v31, v32, v10
	v_fmac_f32_e32 v30, v2, v31
	s_delay_alu instid0(VALU_DEP_1) | instskip(NEXT) | instid1(VALU_DEP_1)
	v_div_fmas_f32 v2, v30, v10, v31
	v_div_fixup_f32 v2, v2, s21, s2
	s_and_saveexec_b32 s3, s0
	s_cbranch_execz .LBB6_55
; %bb.54:                               ;   in Loop: Header=BB6_20 Depth=2
	s_wait_dscnt 0x0
	global_load_b32 v10, v29, s[58:59] scale_offset
	s_wait_loadcnt 0x0
	v_mul_f32_e32 v10, v2, v10
	global_store_b32 v29, v10, s[58:59] scale_offset
.LBB6_55:                               ;   in Loop: Header=BB6_20 Depth=2
	s_wait_xcnt 0x0
	s_or_b32 exec_lo, exec_lo, s3
	s_wait_dscnt 0x0
	v_add_nc_u32_e32 v30, v28, v0
	s_mov_b32 s3, exec_lo
	s_delay_alu instid0(VALU_DEP_1)
	v_cmpx_lt_i32_e64 v30, v29
	s_cbranch_execz .LBB6_58
; %bb.56:                               ;   in Loop: Header=BB6_20 Depth=2
	v_ashrrev_i32_e32 v31, 31, v30
	s_mov_b32 s4, 0
	s_delay_alu instid0(VALU_DEP_1)
	v_lshl_add_u64 v[32:33], v[30:31], 2, s[56:57]
.LBB6_57:                               ;   Parent Loop BB6_7 Depth=1
                                        ;     Parent Loop BB6_20 Depth=2
                                        ; =>    This Inner Loop Header: Depth=3
	s_delay_alu instid0(VALU_DEP_1) | instskip(SKIP_3) | instid1(VALU_DEP_2)
	v_add_nc_u64_e32 v[34:35], s[12:13], v[32:33]
	v_add_nc_u64_e32 v[36:37], s[16:17], v[32:33]
	v_add_nc_u32_e32 v30, s95, v30
	v_add_nc_u64_e32 v[32:33], s[36:37], v[32:33]
	v_cmp_ge_i32_e32 vcc_lo, v30, v29
	global_load_b32 v10, v[34:35], off
	s_or_b32 s4, vcc_lo, s4
	s_wait_loadcnt 0x0
	v_mul_f32_e32 v10, v2, v10
	global_store_b32 v[34:35], v10, off
	global_load_b32 v10, v[36:37], off
	s_wait_loadcnt 0x0
	v_mul_f32_e32 v10, v2, v10
	global_store_b32 v[36:37], v10, off
	s_wait_xcnt 0x0
	s_and_not1_b32 exec_lo, exec_lo, s4
	s_cbranch_execnz .LBB6_57
.LBB6_58:                               ;   in Loop: Header=BB6_20 Depth=2
	s_or_b32 exec_lo, exec_lo, s3
.LBB6_59:                               ;   in Loop: Header=BB6_20 Depth=2
	s_mov_b32 s3, 0
.LBB6_60:                               ;   in Loop: Header=BB6_20 Depth=2
	s_delay_alu instid0(SALU_CYCLE_1)
	s_and_not1_b32 vcc_lo, exec_lo, s3
	s_cbranch_vccnz .LBB6_67
; %bb.61:                               ;   in Loop: Header=BB6_20 Depth=2
	v_div_scale_f32 v2, null, s22, s22, s2
	v_div_scale_f32 v30, vcc_lo, s2, s22, s2
	s_delay_alu instid0(VALU_DEP_2)
	v_rcp_f32_e32 v10, v2
	v_nop
	v_xor_b32_e32 v2, 0x80000000, v2
	s_delay_alu instid0(TRANS32_DEP_1) | instid1(VALU_DEP_1)
	v_fma_f32 v28, v2, v10, 1.0
	s_delay_alu instid0(VALU_DEP_1) | instskip(SKIP_2) | instid1(VALU_DEP_1)
	v_fmac_f32_e32 v10, v28, v10
	ds_load_2addr_b32 v[28:29], v3 offset0:4 offset1:8
	v_mul_f32_e32 v31, v30, v10
	v_fma_f32 v32, v2, v31, v30
	s_delay_alu instid0(VALU_DEP_1) | instskip(NEXT) | instid1(VALU_DEP_1)
	v_fmac_f32_e32 v31, v32, v10
	v_fmac_f32_e32 v30, v2, v31
	s_delay_alu instid0(VALU_DEP_1) | instskip(NEXT) | instid1(VALU_DEP_1)
	v_div_fmas_f32 v2, v30, v10, v31
	v_div_fixup_f32 v2, v2, s22, s2
	s_and_saveexec_b32 s2, s0
	s_cbranch_execz .LBB6_63
; %bb.62:                               ;   in Loop: Header=BB6_20 Depth=2
	s_wait_dscnt 0x0
	global_load_b32 v10, v29, s[58:59] scale_offset
	s_wait_loadcnt 0x0
	v_mul_f32_e32 v10, v2, v10
	global_store_b32 v29, v10, s[58:59] scale_offset
.LBB6_63:                               ;   in Loop: Header=BB6_20 Depth=2
	s_wait_xcnt 0x0
	s_or_b32 exec_lo, exec_lo, s2
	s_wait_dscnt 0x0
	v_add_nc_u32_e32 v30, v28, v0
	s_mov_b32 s2, exec_lo
	s_delay_alu instid0(VALU_DEP_1)
	v_cmpx_lt_i32_e64 v30, v29
	s_cbranch_execz .LBB6_66
; %bb.64:                               ;   in Loop: Header=BB6_20 Depth=2
	v_ashrrev_i32_e32 v31, 31, v30
	s_mov_b32 s3, 0
	s_delay_alu instid0(VALU_DEP_1)
	v_lshl_add_u64 v[32:33], v[30:31], 2, s[56:57]
.LBB6_65:                               ;   Parent Loop BB6_7 Depth=1
                                        ;     Parent Loop BB6_20 Depth=2
                                        ; =>    This Inner Loop Header: Depth=3
	s_delay_alu instid0(VALU_DEP_1) | instskip(SKIP_3) | instid1(VALU_DEP_2)
	v_add_nc_u64_e32 v[34:35], s[12:13], v[32:33]
	v_add_nc_u64_e32 v[36:37], s[16:17], v[32:33]
	v_add_nc_u32_e32 v30, s95, v30
	v_add_nc_u64_e32 v[32:33], s[36:37], v[32:33]
	v_cmp_ge_i32_e32 vcc_lo, v30, v29
	global_load_b32 v10, v[34:35], off
	s_or_b32 s3, vcc_lo, s3
	s_wait_loadcnt 0x0
	v_mul_f32_e32 v10, v2, v10
	global_store_b32 v[34:35], v10, off
	global_load_b32 v10, v[36:37], off
	s_wait_loadcnt 0x0
	v_mul_f32_e32 v10, v2, v10
	global_store_b32 v[36:37], v10, off
	s_wait_xcnt 0x0
	s_and_not1_b32 exec_lo, exec_lo, s3
	s_cbranch_execnz .LBB6_65
.LBB6_66:                               ;   in Loop: Header=BB6_20 Depth=2
	s_or_b32 exec_lo, exec_lo, s2
.LBB6_67:                               ;   in Loop: Header=BB6_20 Depth=2
	s_wait_storecnt 0x0
	s_barrier_signal -1
	s_barrier_wait -1
	ds_load_b32 v31, v3 offset:28
	ds_load_2addr_b32 v[28:29], v3 offset1:5
	s_mov_b32 s4, -1
                                        ; implicit-def: $vgpr34_vgpr35
                                        ; implicit-def: $vgpr32_vgpr33
	s_wait_dscnt 0x1
	v_cmp_gt_i32_e64 s2, s15, v31
	s_wait_dscnt 0x0
	v_cmp_lt_i32_e32 vcc_lo, v29, v28
	v_mov_b32_e32 v30, v29
                                        ; implicit-def: $vgpr29
	s_delay_alu instid0(VALU_DEP_3) | instskip(NEXT) | instid1(VALU_DEP_1)
	v_cndmask_b32_e64 v2, 0, 1, s2
	v_cmp_ne_u32_e64 s3, 1, v2
	s_cbranch_vccnz .LBB6_70
; %bb.68:                               ;   in Loop: Header=BB6_20 Depth=2
	v_mov_b64_e32 v[34:35], v[16:17]
	v_mov_b64_e32 v[32:33], v[14:15]
	v_dual_mov_b32 v29, v1 :: v_dual_mov_b32 v45, v31
	v_dual_mov_b32 v44, v30 :: v_dual_mov_b32 v36, v28
	s_and_b32 vcc_lo, exec_lo, s3
	s_cbranch_vccz .LBB6_166
.LBB6_69:                               ;   in Loop: Header=BB6_20 Depth=2
	s_mov_b32 s4, 0
.LBB6_70:                               ;   in Loop: Header=BB6_20 Depth=2
	s_delay_alu instid0(SALU_CYCLE_1)
	s_and_not1_b32 vcc_lo, exec_lo, s4
	s_cbranch_vccz .LBB6_87
; %bb.71:                               ;   in Loop: Header=BB6_20 Depth=2
	v_mov_b64_e32 v[14:15], v[32:33]
	v_mov_b64_e32 v[16:17], v[34:35]
	v_mov_b32_e32 v1, v29
.LBB6_72:                               ;   in Loop: Header=BB6_20 Depth=2
	s_barrier_signal -1
	s_barrier_wait -1
	ds_load_b32 v2, v3 offset:24
	s_wait_dscnt 0x0
	v_cmp_nlt_f32_e32 vcc_lo, s22, v2
	s_cbranch_vccnz .LBB6_79
; %bb.73:                               ;   in Loop: Header=BB6_20 Depth=2
	v_div_scale_f32 v10, null, v2, v2, s22
	v_div_scale_f32 v31, vcc_lo, s22, v2, s22
	s_delay_alu instid0(VALU_DEP_2)
	v_rcp_f32_e32 v30, v10
	v_nop
	v_xor_b32_e32 v10, 0x80000000, v10
	s_delay_alu instid0(TRANS32_DEP_1) | instid1(VALU_DEP_1)
	v_fma_f32 v28, v10, v30, 1.0
	s_delay_alu instid0(VALU_DEP_1) | instskip(SKIP_2) | instid1(VALU_DEP_1)
	v_fmac_f32_e32 v30, v28, v30
	ds_load_2addr_b32 v[28:29], v3 offset0:4 offset1:8
	v_mul_f32_e32 v32, v31, v30
	v_fma_f32 v33, v10, v32, v31
	s_delay_alu instid0(VALU_DEP_1) | instskip(NEXT) | instid1(VALU_DEP_1)
	v_fmac_f32_e32 v32, v33, v30
	v_fmac_f32_e32 v31, v10, v32
	s_delay_alu instid0(VALU_DEP_1) | instskip(NEXT) | instid1(VALU_DEP_1)
	v_div_fmas_f32 v10, v31, v30, v32
	v_div_fixup_f32 v10, v10, v2, s22
	s_and_saveexec_b32 s2, s0
	s_cbranch_execz .LBB6_75
; %bb.74:                               ;   in Loop: Header=BB6_20 Depth=2
	s_wait_dscnt 0x0
	global_load_b32 v30, v29, s[58:59] scale_offset
	s_wait_loadcnt 0x0
	v_mul_f32_e32 v30, v10, v30
	global_store_b32 v29, v30, s[58:59] scale_offset
.LBB6_75:                               ;   in Loop: Header=BB6_20 Depth=2
	s_wait_xcnt 0x0
	s_or_b32 exec_lo, exec_lo, s2
	s_wait_dscnt 0x0
	v_add_nc_u32_e32 v30, v28, v0
	s_mov_b32 s2, exec_lo
	s_delay_alu instid0(VALU_DEP_1)
	v_cmpx_lt_i32_e64 v30, v29
	s_cbranch_execz .LBB6_78
; %bb.76:                               ;   in Loop: Header=BB6_20 Depth=2
	v_ashrrev_i32_e32 v31, 31, v30
	s_mov_b32 s3, 0
	s_delay_alu instid0(VALU_DEP_1)
	v_lshl_add_u64 v[32:33], v[30:31], 2, s[56:57]
.LBB6_77:                               ;   Parent Loop BB6_7 Depth=1
                                        ;     Parent Loop BB6_20 Depth=2
                                        ; =>    This Inner Loop Header: Depth=3
	s_delay_alu instid0(VALU_DEP_1)
	v_add_nc_u64_e32 v[34:35], s[12:13], v[32:33]
	v_add_nc_u64_e32 v[36:37], s[16:17], v[32:33]
	;; [unrolled: 1-line block ×3, first 2 shown]
	v_add_nc_u32_e32 v30, s95, v30
	global_load_b32 v28, v[34:35], off
	v_cmp_ge_i32_e32 vcc_lo, v30, v29
	s_or_b32 s3, vcc_lo, s3
	s_wait_loadcnt 0x0
	v_mul_f32_e32 v28, v10, v28
	global_store_b32 v[34:35], v28, off
	global_load_b32 v28, v[36:37], off
	s_wait_loadcnt 0x0
	v_mul_f32_e32 v28, v10, v28
	global_store_b32 v[36:37], v28, off
	s_wait_xcnt 0x0
	s_and_not1_b32 exec_lo, exec_lo, s3
	s_cbranch_execnz .LBB6_77
.LBB6_78:                               ;   in Loop: Header=BB6_20 Depth=2
	s_or_b32 exec_lo, exec_lo, s2
.LBB6_79:                               ;   in Loop: Header=BB6_20 Depth=2
	v_cmp_ngt_f32_e32 vcc_lo, s21, v2
	s_cbranch_vccnz .LBB6_18
; %bb.80:                               ;   in Loop: Header=BB6_20 Depth=2
	v_div_scale_f32 v10, null, v2, v2, s21
	v_div_scale_f32 v31, vcc_lo, s21, v2, s21
	s_delay_alu instid0(VALU_DEP_2)
	v_rcp_f32_e32 v30, v10
	v_nop
	v_xor_b32_e32 v10, 0x80000000, v10
	s_delay_alu instid0(TRANS32_DEP_1) | instid1(VALU_DEP_1)
	v_fma_f32 v28, v10, v30, 1.0
	s_delay_alu instid0(VALU_DEP_1) | instskip(SKIP_2) | instid1(VALU_DEP_1)
	v_fmac_f32_e32 v30, v28, v30
	ds_load_2addr_b32 v[28:29], v3 offset0:4 offset1:8
	v_mul_f32_e32 v32, v31, v30
	v_fma_f32 v33, v10, v32, v31
	s_delay_alu instid0(VALU_DEP_1) | instskip(NEXT) | instid1(VALU_DEP_1)
	v_fmac_f32_e32 v32, v33, v30
	v_fmac_f32_e32 v31, v10, v32
	s_delay_alu instid0(VALU_DEP_1) | instskip(NEXT) | instid1(VALU_DEP_1)
	v_div_fmas_f32 v10, v31, v30, v32
	v_div_fixup_f32 v2, v10, v2, s21
	s_and_saveexec_b32 s2, s0
	s_cbranch_execz .LBB6_82
; %bb.81:                               ;   in Loop: Header=BB6_20 Depth=2
	s_wait_dscnt 0x0
	global_load_b32 v10, v29, s[58:59] scale_offset
	s_wait_loadcnt 0x0
	v_mul_f32_e32 v10, v2, v10
	global_store_b32 v29, v10, s[58:59] scale_offset
.LBB6_82:                               ;   in Loop: Header=BB6_20 Depth=2
	s_wait_xcnt 0x0
	s_or_b32 exec_lo, exec_lo, s2
	s_wait_dscnt 0x0
	v_add_nc_u32_e32 v30, v28, v0
	s_mov_b32 s2, exec_lo
	s_delay_alu instid0(VALU_DEP_1)
	v_cmpx_lt_i32_e64 v30, v29
	s_cbranch_execz .LBB6_17
; %bb.83:                               ;   in Loop: Header=BB6_20 Depth=2
	v_ashrrev_i32_e32 v31, 31, v30
	s_mov_b32 s3, 0
	s_delay_alu instid0(VALU_DEP_1)
	v_lshl_add_u64 v[32:33], v[30:31], 2, s[56:57]
.LBB6_84:                               ;   Parent Loop BB6_7 Depth=1
                                        ;     Parent Loop BB6_20 Depth=2
                                        ; =>    This Inner Loop Header: Depth=3
	s_delay_alu instid0(VALU_DEP_1) | instskip(SKIP_3) | instid1(VALU_DEP_2)
	v_add_nc_u64_e32 v[34:35], s[12:13], v[32:33]
	v_add_nc_u64_e32 v[36:37], s[16:17], v[32:33]
	v_add_nc_u32_e32 v30, s95, v30
	v_add_nc_u64_e32 v[32:33], s[36:37], v[32:33]
	v_cmp_ge_i32_e32 vcc_lo, v30, v29
	global_load_b32 v10, v[34:35], off
	s_or_b32 s3, vcc_lo, s3
	s_wait_loadcnt 0x0
	v_mul_f32_e32 v10, v2, v10
	global_store_b32 v[34:35], v10, off
	global_load_b32 v10, v[36:37], off
	s_wait_loadcnt 0x0
	v_mul_f32_e32 v10, v2, v10
	global_store_b32 v[36:37], v10, off
	s_wait_xcnt 0x0
	s_and_not1_b32 exec_lo, exec_lo, s3
	s_cbranch_execnz .LBB6_84
	s_branch .LBB6_17
.LBB6_85:                               ;   in Loop: Header=BB6_87 Depth=3
	s_or_b32 exec_lo, exec_lo, s4
	s_wait_storecnt 0x0
	s_barrier_signal -1
	s_barrier_wait -1
	ds_load_b32 v28, v3
.LBB6_86:                               ;   in Loop: Header=BB6_87 Depth=3
	ds_load_2addr_b32 v[30:31], v3 offset0:5 offset1:7
	s_wait_dscnt 0x0
	v_cmp_ge_i32_e32 vcc_lo, v28, v30
	v_cmp_gt_i32_e64 s2, s15, v31
	s_and_b32 s2, vcc_lo, s2
.LBB6_87:                               ;   Parent Loop BB6_7 Depth=1
                                        ;     Parent Loop BB6_20 Depth=2
                                        ; =>    This Loop Header: Depth=3
                                        ;         Child Loop BB6_94 Depth 4
                                        ;         Child Loop BB6_114 Depth 4
	;; [unrolled: 1-line block ×3, first 2 shown]
                                        ;           Child Loop BB6_162 Depth 5
	s_delay_alu instid0(SALU_CYCLE_1)
	s_and_not1_b32 vcc_lo, exec_lo, s2
	s_cbranch_vccnz .LBB6_72
; %bb.88:                               ;   in Loop: Header=BB6_87 Depth=3
	s_and_saveexec_b32 s4, s0
	s_cbranch_execz .LBB6_157
; %bb.89:                               ;   in Loop: Header=BB6_87 Depth=3
	v_cmp_gt_i32_e32 vcc_lo, v28, v30
	s_mov_b32 s2, 0
	s_cbranch_vccnz .LBB6_91
; %bb.90:                               ;   in Loop: Header=BB6_87 Depth=3
	v_ashrrev_i32_e32 v29, 31, v28
	s_mov_b32 s3, -1
	s_delay_alu instid0(VALU_DEP_1)
	v_mov_b64_e32 v[36:37], v[28:29]
	v_mov_b32_e32 v32, v28
	s_cbranch_execz .LBB6_92
	s_branch .LBB6_97
.LBB6_91:                               ;   in Loop: Header=BB6_87 Depth=3
	s_mov_b32 s3, 0
                                        ; implicit-def: $vgpr36_vgpr37
	v_mov_b32_e32 v32, v28
.LBB6_92:                               ;   in Loop: Header=BB6_87 Depth=3
	v_dual_mov_b32 v2, v28 :: v_dual_ashrrev_i32 v29, 31, v28
	s_delay_alu instid0(VALU_DEP_1) | instskip(NEXT) | instid1(VALU_DEP_1)
	v_lshlrev_b64_e32 v[18:19], 2, v[28:29]
	v_add_nc_u64_e32 v[12:13], s[60:61], v[18:19]
	v_add_nc_u64_e32 v[18:19], s[80:81], v[18:19]
	s_branch .LBB6_94
.LBB6_93:                               ;   in Loop: Header=BB6_94 Depth=4
	v_add_nc_u32_e32 v2, -1, v54
	v_add_nc_u64_e32 v[18:19], -4, v[18:19]
	s_mov_b32 s2, 0
	s_delay_alu instid0(VALU_DEP_2)
	v_cmp_le_i32_e64 s3, v2, v30
	v_add_nc_u64_e32 v[12:13], -4, v[12:13]
	s_and_not1_b32 vcc_lo, exec_lo, s3
	s_cbranch_vccz .LBB6_96
.LBB6_94:                               ;   Parent Loop BB6_7 Depth=1
                                        ;     Parent Loop BB6_20 Depth=2
                                        ;       Parent Loop BB6_87 Depth=3
                                        ; =>      This Inner Loop Header: Depth=4
	global_load_b64 v[32:33], v[18:19], off
	global_load_b32 v10, v[12:13], off offset:-4
	s_wait_loadcnt 0x1
	v_dual_mov_b32 v54, v2 :: v_dual_mul_f32 v32, v33, v32
	s_wait_loadcnt 0x0
	v_mul_f32_e32 v10, v10, v10
	s_delay_alu instid0(VALU_DEP_2) | instskip(NEXT) | instid1(VALU_DEP_2)
	v_and_b32_e32 v32, 0x7fffffff, v32
	v_and_b32_e32 v10, 0x7fffffff, v10
	s_delay_alu instid0(VALU_DEP_2) | instskip(NEXT) | instid1(VALU_DEP_1)
	v_mul_f32_e32 v32, s94, v32
	v_cmp_le_f32_e32 vcc_lo, v10, v32
	s_cbranch_vccz .LBB6_93
; %bb.95:                               ;   in Loop: Header=BB6_87 Depth=3
	s_mov_b32 s2, -1
                                        ; implicit-def: $vgpr2
                                        ; implicit-def: $vgpr18_vgpr19
	v_add_nc_u64_e32 v[12:13], -4, v[12:13]
.LBB6_96:                               ;   in Loop: Header=BB6_87 Depth=3
	v_mov_b64_e32 v[18:19], v[28:29]
	v_mov_b64_e32 v[36:37], v[28:29]
	v_mov_b32_e32 v32, v30
	s_xor_b32 s3, s2, -1
	s_mov_b32 s2, -1
.LBB6_97:                               ;   in Loop: Header=BB6_87 Depth=3
	s_and_b32 vcc_lo, exec_lo, s3
	s_cbranch_vccnz .LBB6_126
; %bb.98:                               ;   in Loop: Header=BB6_87 Depth=3
	s_and_not1_b32 vcc_lo, exec_lo, s2
	s_cbranch_vccnz .LBB6_100
.LBB6_99:                               ;   in Loop: Header=BB6_87 Depth=3
	v_mov_b64_e32 v[36:37], v[18:19]
	v_mov_b32_e32 v32, v54
	ds_store_2addr_b32 v3, v54, v28 offset0:1 offset1:4
	global_store_b32 v[12:13], v3, off
.LBB6_100:                              ;   in Loop: Header=BB6_87 Depth=3
	v_lshl_add_u64 v[34:35], v[36:37], 2, s[58:59]
	v_add_nc_u32_e32 v2, -1, v28
	s_mov_b32 s2, exec_lo
	global_load_b32 v30, v[34:35], off
	s_wait_loadcnt 0x0
	ds_store_b32 v3, v30 offset:8
	s_wait_xcnt 0x0
	v_cmpx_ne_u32_e64 v32, v28
	s_xor_b32 s27, exec_lo, s2
	s_cbranch_execz .LBB6_154
; %bb.101:                              ;   in Loop: Header=BB6_87 Depth=3
	s_mov_b32 s2, exec_lo
	v_cmpx_ne_u32_e64 v32, v2
	s_xor_b32 s3, exec_lo, s2
	s_cbranch_execz .LBB6_130
; %bb.102:                              ;   in Loop: Header=BB6_87 Depth=3
	v_lshl_add_u64 v[36:37], v[36:37], 2, s[60:61]
	s_mov_b32 s51, exec_lo
	global_load_b32 v2, v[34:35], off offset:-4
	global_load_b32 v10, v[36:37], off offset:-4
	global_load_b32 v29, v32, s[58:59] scale_offset
	v_add_nc_u32_e32 v31, 1, v31
	ds_store_2addr_b32 v3, v3, v31 offset0:2 offset1:7
	s_wait_loadcnt 0x2
	v_sub_f32_e32 v2, v2, v30
	s_wait_loadcnt 0x1
	v_add_f32_e32 v33, v10, v10
	s_delay_alu instid0(VALU_DEP_1) | instskip(NEXT) | instid1(VALU_DEP_1)
	v_div_scale_f32 v38, null, v33, v33, v2
	v_rcp_f32_e32 v39, v38
	v_nop
	s_delay_alu instid0(TRANS32_DEP_1) | instskip(NEXT) | instid1(VALU_DEP_1)
	v_fma_f32 v40, -v38, v39, 1.0
	v_fmac_f32_e32 v39, v40, v39
	v_div_scale_f32 v41, vcc_lo, v2, v33, v2
	s_delay_alu instid0(VALU_DEP_1) | instskip(NEXT) | instid1(VALU_DEP_1)
	v_mul_f32_e32 v40, v41, v39
	v_fma_f32 v42, -v38, v40, v41
	s_delay_alu instid0(VALU_DEP_1) | instskip(NEXT) | instid1(VALU_DEP_1)
	v_fmac_f32_e32 v40, v42, v39
	v_fma_f32 v38, -v38, v40, v41
	s_delay_alu instid0(VALU_DEP_1) | instskip(NEXT) | instid1(VALU_DEP_1)
	v_div_fmas_f32 v38, v38, v39, v40
	v_div_fixup_f32 v2, v38, v33, v2
	s_delay_alu instid0(VALU_DEP_1) | instskip(NEXT) | instid1(VALU_DEP_1)
	v_fma_f32 v33, v2, v2, 1.0
	v_mul_f32_e32 v38, 0x4f800000, v33
	v_cmp_gt_f32_e32 vcc_lo, 0xf800000, v33
	s_delay_alu instid0(VALU_DEP_2) | instskip(NEXT) | instid1(VALU_DEP_1)
	v_cndmask_b32_e32 v33, v33, v38, vcc_lo
	v_sqrt_f32_e32 v38, v33
	v_nop
	s_delay_alu instid0(TRANS32_DEP_1) | instskip(NEXT) | instid1(VALU_DEP_1)
	v_dual_add_nc_u32 v39, -1, v38 :: v_dual_add_nc_u32 v40, 1, v38
	v_dual_fma_f32 v41, -v39, v38, v33 :: v_dual_fma_f32 v42, -v40, v38, v33
	s_delay_alu instid0(VALU_DEP_1) | instskip(NEXT) | instid1(VALU_DEP_1)
	v_cmp_ge_f32_e64 s2, 0, v41
	v_cndmask_b32_e64 v38, v38, v39, s2
	s_delay_alu instid0(VALU_DEP_3) | instskip(NEXT) | instid1(VALU_DEP_1)
	v_cmp_lt_f32_e64 s2, 0, v42
	v_cndmask_b32_e64 v38, v38, v40, s2
	s_delay_alu instid0(VALU_DEP_1) | instskip(NEXT) | instid1(VALU_DEP_1)
	v_mul_f32_e32 v39, 0x37800000, v38
	v_cndmask_b32_e32 v38, v38, v39, vcc_lo
	v_cmp_class_f32_e64 vcc_lo, v33, 0x260
	s_delay_alu instid0(VALU_DEP_2) | instskip(SKIP_1) | instid1(VALU_DEP_2)
	v_cndmask_b32_e32 v33, v38, v33, vcc_lo
	v_cmp_nle_f32_e32 vcc_lo, 0, v2
	v_cndmask_b32_e64 v33, |v33|, -|v33|, vcc_lo
	s_delay_alu instid0(VALU_DEP_1) | instskip(NEXT) | instid1(VALU_DEP_1)
	v_add_f32_e32 v2, v2, v33
	v_div_scale_f32 v33, null, v2, v2, v10
	v_div_scale_f32 v40, vcc_lo, v10, v2, v10
	s_delay_alu instid0(VALU_DEP_2) | instskip(SKIP_1) | instid1(TRANS32_DEP_1)
	v_rcp_f32_e32 v38, v33
	v_nop
	v_fma_f32 v39, -v33, v38, 1.0
	s_delay_alu instid0(VALU_DEP_1) | instskip(NEXT) | instid1(VALU_DEP_1)
	v_fmac_f32_e32 v38, v39, v38
	v_mul_f32_e32 v39, v40, v38
	s_delay_alu instid0(VALU_DEP_1) | instskip(NEXT) | instid1(VALU_DEP_1)
	v_fma_f32 v41, -v33, v39, v40
	v_fmac_f32_e32 v39, v41, v38
	s_delay_alu instid0(VALU_DEP_1) | instskip(NEXT) | instid1(VALU_DEP_1)
	v_fma_f32 v33, -v33, v39, v40
	v_div_fmas_f32 v33, v33, v38, v39
	s_wait_loadcnt 0x0
	v_sub_f32_e32 v38, v29, v30
	s_delay_alu instid0(VALU_DEP_2) | instskip(NEXT) | instid1(VALU_DEP_1)
	v_div_fixup_f32 v10, v33, v2, v10
	v_dual_mov_b32 v2, 0 :: v_dual_add_f32 v39, v38, v10
	s_wait_xcnt 0x0
	v_cmpx_lt_i32_e64 v32, v28
	s_cbranch_execz .LBB6_129
; %bb.103:                              ;   in Loop: Header=BB6_87 Depth=3
	v_ashrrev_i32_e32 v33, 31, v32
	s_mov_b32 s84, exec_lo
	s_delay_alu instid0(VALU_DEP_1)
	v_lshl_add_u64 v[30:31], v[32:33], 2, s[60:61]
	global_load_b32 v38, v[30:31], off
	s_wait_xcnt 0x0
	v_dual_mov_b32 v30, 0 :: v_dual_mov_b32 v31, 1.0
	s_wait_loadcnt 0x0
	v_cmpx_neq_f32_e32 0, v38
	s_cbranch_execz .LBB6_111
; %bb.104:                              ;   in Loop: Header=BB6_87 Depth=3
	v_dual_mov_b32 v31, 0 :: v_dual_mov_b32 v30, 1.0
	s_mov_b32 s85, exec_lo
	v_cmpx_neq_f32_e32 0, v39
	s_cbranch_execz .LBB6_110
; %bb.105:                              ;   in Loop: Header=BB6_87 Depth=3
	s_mov_b32 s86, exec_lo
                                        ; implicit-def: $vgpr31
	v_cmpx_ngt_f32_e64 |v38|, |v39|
	s_xor_b32 s86, exec_lo, s86
	s_cbranch_execz .LBB6_107
; %bb.106:                              ;   in Loop: Header=BB6_87 Depth=3
	v_div_scale_f32 v2, null, v39, v39, -v38
	v_div_scale_f32 v31, vcc_lo, -v38, v39, -v38
	s_delay_alu instid0(VALU_DEP_2) | instskip(SKIP_1) | instid1(TRANS32_DEP_1)
	v_rcp_f32_e32 v10, v2
	v_nop
	v_fma_f32 v30, -v2, v10, 1.0
	s_delay_alu instid0(VALU_DEP_1) | instskip(NEXT) | instid1(VALU_DEP_1)
	v_fmac_f32_e32 v10, v30, v10
	v_mul_f32_e32 v30, v31, v10
	s_delay_alu instid0(VALU_DEP_1) | instskip(NEXT) | instid1(VALU_DEP_1)
	v_fma_f32 v40, -v2, v30, v31
	v_fmac_f32_e32 v30, v40, v10
	s_delay_alu instid0(VALU_DEP_1) | instskip(NEXT) | instid1(VALU_DEP_1)
	v_fma_f32 v2, -v2, v30, v31
	v_div_fmas_f32 v2, v2, v10, v30
	s_delay_alu instid0(VALU_DEP_1) | instskip(NEXT) | instid1(VALU_DEP_1)
	v_div_fixup_f32 v2, v2, v39, -v38
	v_fma_f32 v10, v2, v2, 1.0
	s_delay_alu instid0(VALU_DEP_1) | instskip(SKIP_1) | instid1(VALU_DEP_2)
	v_mul_f32_e32 v30, 0x4f800000, v10
	v_cmp_gt_f32_e32 vcc_lo, 0xf800000, v10
	v_cndmask_b32_e32 v10, v10, v30, vcc_lo
	s_delay_alu instid0(VALU_DEP_1) | instskip(SKIP_1) | instid1(TRANS32_DEP_1)
	v_sqrt_f32_e32 v30, v10
	v_nop
	v_dual_add_nc_u32 v31, -1, v30 :: v_dual_add_nc_u32 v39, 1, v30
	s_delay_alu instid0(VALU_DEP_1) | instskip(NEXT) | instid1(VALU_DEP_2)
	v_fma_f32 v40, -v31, v30, v10
	v_fma_f32 v41, -v39, v30, v10
	s_delay_alu instid0(VALU_DEP_2) | instskip(NEXT) | instid1(VALU_DEP_1)
	v_cmp_ge_f32_e64 s2, 0, v40
	v_cndmask_b32_e64 v30, v30, v31, s2
	s_delay_alu instid0(VALU_DEP_3) | instskip(NEXT) | instid1(VALU_DEP_1)
	v_cmp_lt_f32_e64 s2, 0, v41
	v_cndmask_b32_e64 v30, v30, v39, s2
	s_delay_alu instid0(VALU_DEP_1) | instskip(NEXT) | instid1(VALU_DEP_1)
	v_mul_f32_e32 v31, 0x37800000, v30
	v_cndmask_b32_e32 v30, v30, v31, vcc_lo
	v_cmp_class_f32_e64 vcc_lo, v10, 0x260
	s_delay_alu instid0(VALU_DEP_2) | instskip(NEXT) | instid1(VALU_DEP_1)
	v_cndmask_b32_e32 v10, v30, v10, vcc_lo
	v_div_scale_f32 v30, null, v10, v10, 1.0
	s_delay_alu instid0(VALU_DEP_1) | instskip(SKIP_1) | instid1(TRANS32_DEP_1)
	v_rcp_f32_e32 v31, v30
	v_nop
	v_fma_f32 v39, -v30, v31, 1.0
	s_delay_alu instid0(VALU_DEP_1) | instskip(SKIP_1) | instid1(VALU_DEP_1)
	v_fmac_f32_e32 v31, v39, v31
	v_div_scale_f32 v39, vcc_lo, 1.0, v10, 1.0
	v_mul_f32_e32 v40, v39, v31
	s_delay_alu instid0(VALU_DEP_1) | instskip(NEXT) | instid1(VALU_DEP_1)
	v_fma_f32 v41, -v30, v40, v39
	v_fmac_f32_e32 v40, v41, v31
	s_delay_alu instid0(VALU_DEP_1) | instskip(NEXT) | instid1(VALU_DEP_1)
	v_fma_f32 v30, -v30, v40, v39
                                        ; implicit-def: $vgpr39
	v_div_fmas_f32 v30, v30, v31, v40
	s_delay_alu instid0(VALU_DEP_1) | instskip(NEXT) | instid1(VALU_DEP_1)
	v_div_fixup_f32 v31, v30, v10, 1.0
	v_mul_f32_e32 v30, v2, v31
.LBB6_107:                              ;   in Loop: Header=BB6_87 Depth=3
	s_and_not1_saveexec_b32 s86, s86
	s_cbranch_execz .LBB6_109
; %bb.108:                              ;   in Loop: Header=BB6_87 Depth=3
	v_div_scale_f32 v2, null, v38, v38, -v39
	v_div_scale_f32 v31, vcc_lo, -v39, v38, -v39
	s_delay_alu instid0(VALU_DEP_2) | instskip(SKIP_1) | instid1(TRANS32_DEP_1)
	v_rcp_f32_e32 v10, v2
	v_nop
	v_fma_f32 v30, -v2, v10, 1.0
	s_delay_alu instid0(VALU_DEP_1) | instskip(NEXT) | instid1(VALU_DEP_1)
	v_fmac_f32_e32 v10, v30, v10
	v_mul_f32_e32 v30, v31, v10
	s_delay_alu instid0(VALU_DEP_1) | instskip(NEXT) | instid1(VALU_DEP_1)
	v_fma_f32 v40, -v2, v30, v31
	v_fmac_f32_e32 v30, v40, v10
	s_delay_alu instid0(VALU_DEP_1) | instskip(NEXT) | instid1(VALU_DEP_1)
	v_fma_f32 v2, -v2, v30, v31
	v_div_fmas_f32 v2, v2, v10, v30
	s_delay_alu instid0(VALU_DEP_1) | instskip(NEXT) | instid1(VALU_DEP_1)
	v_div_fixup_f32 v2, v2, v38, -v39
	v_fma_f32 v10, v2, v2, 1.0
	s_delay_alu instid0(VALU_DEP_1) | instskip(SKIP_1) | instid1(VALU_DEP_2)
	v_mul_f32_e32 v30, 0x4f800000, v10
	v_cmp_gt_f32_e32 vcc_lo, 0xf800000, v10
	v_cndmask_b32_e32 v10, v10, v30, vcc_lo
	s_delay_alu instid0(VALU_DEP_1) | instskip(SKIP_1) | instid1(TRANS32_DEP_1)
	v_sqrt_f32_e32 v30, v10
	v_nop
	v_dual_add_nc_u32 v31, -1, v30 :: v_dual_add_nc_u32 v39, 1, v30
	s_delay_alu instid0(VALU_DEP_1) | instskip(NEXT) | instid1(VALU_DEP_2)
	v_fma_f32 v40, -v31, v30, v10
	v_fma_f32 v41, -v39, v30, v10
	s_delay_alu instid0(VALU_DEP_2) | instskip(NEXT) | instid1(VALU_DEP_1)
	v_cmp_ge_f32_e64 s2, 0, v40
	v_cndmask_b32_e64 v30, v30, v31, s2
	s_delay_alu instid0(VALU_DEP_3) | instskip(NEXT) | instid1(VALU_DEP_1)
	v_cmp_lt_f32_e64 s2, 0, v41
	v_cndmask_b32_e64 v30, v30, v39, s2
	s_delay_alu instid0(VALU_DEP_1) | instskip(NEXT) | instid1(VALU_DEP_1)
	v_mul_f32_e32 v31, 0x37800000, v30
	v_cndmask_b32_e32 v30, v30, v31, vcc_lo
	v_cmp_class_f32_e64 vcc_lo, v10, 0x260
	s_delay_alu instid0(VALU_DEP_2) | instskip(NEXT) | instid1(VALU_DEP_1)
	v_cndmask_b32_e32 v10, v30, v10, vcc_lo
	v_div_scale_f32 v30, null, v10, v10, 1.0
	s_delay_alu instid0(VALU_DEP_1) | instskip(SKIP_1) | instid1(TRANS32_DEP_1)
	v_rcp_f32_e32 v31, v30
	v_nop
	v_fma_f32 v39, -v30, v31, 1.0
	s_delay_alu instid0(VALU_DEP_1) | instskip(SKIP_1) | instid1(VALU_DEP_1)
	v_fmac_f32_e32 v31, v39, v31
	v_div_scale_f32 v39, vcc_lo, 1.0, v10, 1.0
	v_mul_f32_e32 v40, v39, v31
	s_delay_alu instid0(VALU_DEP_1) | instskip(NEXT) | instid1(VALU_DEP_1)
	v_fma_f32 v41, -v30, v40, v39
	v_fmac_f32_e32 v40, v41, v31
	s_delay_alu instid0(VALU_DEP_1) | instskip(NEXT) | instid1(VALU_DEP_1)
	v_fma_f32 v30, -v30, v40, v39
	v_div_fmas_f32 v30, v30, v31, v40
	s_delay_alu instid0(VALU_DEP_1) | instskip(NEXT) | instid1(VALU_DEP_1)
	v_div_fixup_f32 v30, v30, v10, 1.0
	v_mul_f32_e32 v31, v2, v30
.LBB6_109:                              ;   in Loop: Header=BB6_87 Depth=3
	s_or_b32 exec_lo, exec_lo, s86
.LBB6_110:                              ;   in Loop: Header=BB6_87 Depth=3
	s_delay_alu instid0(SALU_CYCLE_1)
	s_or_b32 exec_lo, exec_lo, s85
.LBB6_111:                              ;   in Loop: Header=BB6_87 Depth=3
	s_delay_alu instid0(SALU_CYCLE_1)
	s_or_b32 exec_lo, exec_lo, s84
	v_lshl_add_u64 v[42:43], v[32:33], 2, s[58:59]
	v_lshl_add_u64 v[44:45], v[32:33], 2, s[64:65]
	v_xor_b32_e32 v33, 0x80000000, v30
	s_mov_b32 s92, exec_lo
	global_load_b32 v2, v[42:43], off offset:4
	v_lshl_add_u64 v[46:47], s[54:55], 2, v[44:45]
	s_wait_loadcnt 0x0
	v_sub_f32_e32 v10, v2, v29
	s_delay_alu instid0(VALU_DEP_1) | instskip(NEXT) | instid1(VALU_DEP_1)
	v_pk_mul_f32 v[40:41], v[30:31], v[10:11]
	v_dual_fma_f32 v10, v38, v41, -v40 :: v_dual_add_nc_u32 v40, 1, v32
	s_delay_alu instid0(VALU_DEP_1)
	v_dual_mul_f32 v2, v10, -v30 :: v_dual_fma_f32 v29, v10, -v30, v29
	v_fma_f32 v39, v31, v10, -v38
	ds_store_b32 v3, v2 offset:8
	global_store_b32 v[42:43], v29, off
	s_clause 0x1
	global_store_b32 v[44:45], v31, off
	global_store_b32 v[46:47], v33, off offset:-4
	s_wait_xcnt 0x0
	v_cmpx_lt_i32_e64 v40, v28
	s_cbranch_execz .LBB6_128
; %bb.112:                              ;   in Loop: Header=BB6_87 Depth=3
	v_ashrrev_i32_e32 v41, 31, v40
	s_mov_b32 s96, 1
	s_mov_b32 s93, 0
	s_mov_b64 s[84:85], s[58:59]
	s_mov_b64 s[86:87], s[82:83]
	v_lshlrev_b64_e32 v[40:41], 2, v[40:41]
	s_mov_b64 s[88:89], s[74:75]
	s_mov_b64 s[90:91], s[64:65]
	s_branch .LBB6_114
.LBB6_113:                              ;   in Loop: Header=BB6_114 Depth=4
	s_wait_xcnt 0x0
	v_add_nc_u64_e32 v[42:43], s[84:85], v[40:41]
	s_add_co_i32 s96, s96, 1
	v_add_nc_u64_e32 v[46:47], s[90:91], v[40:41]
	v_xor_b32_e32 v33, 0x80000000, v44
	v_add_nc_u64_e32 v[48:49], s[86:87], v[40:41]
	s_add_nc_u64 s[90:91], s[90:91], 4
	s_add_nc_u64 s[88:89], s[88:89], 4
	global_load_b64 v[38:39], v[42:43], off
	s_add_nc_u64 s[86:87], s[86:87], 4
	s_add_nc_u64 s[84:85], s[84:85], 4
	s_wait_loadcnt 0x0
	v_dual_mul_f32 v29, v31, v29 :: v_dual_sub_f32 v2, v38, v2
	s_delay_alu instid0(VALU_DEP_1) | instskip(NEXT) | instid1(VALU_DEP_1)
	v_sub_f32_e32 v10, v39, v2
	v_pk_mul_f32 v[30:31], v[44:45], v[10:11]
	s_delay_alu instid0(VALU_DEP_1) | instskip(SKIP_1) | instid1(VALU_DEP_2)
	v_dual_add_nc_u32 v10, s96, v32 :: v_dual_fma_f32 v30, v29, v31, -v30
	v_mov_b32_e32 v31, v45
	v_cmp_ge_i32_e32 vcc_lo, v10, v28
	s_delay_alu instid0(VALU_DEP_3)
	v_dual_fma_f32 v10, v30, -v44, v2 :: v_dual_mul_f32 v2, v30, -v44
	v_fma_f32 v39, v45, v30, -v29
	s_or_b32 s93, vcc_lo, s93
	global_store_b32 v[42:43], v10, off
	global_store_b32 v[46:47], v45, off
	;; [unrolled: 1-line block ×3, first 2 shown]
	s_wait_xcnt 0x0
	s_and_not1_b32 exec_lo, exec_lo, s93
	s_cbranch_execz .LBB6_127
.LBB6_114:                              ;   Parent Loop BB6_7 Depth=1
                                        ;     Parent Loop BB6_20 Depth=2
                                        ;       Parent Loop BB6_87 Depth=3
                                        ; =>      This Inner Loop Header: Depth=4
	s_delay_alu instid0(VALU_DEP_1)
	v_add_nc_u64_e32 v[42:43], s[88:89], v[40:41]
	v_mov_b32_e32 v45, 1.0
	s_mov_b32 s97, exec_lo
	v_mov_b32_e32 v44, 0
	global_load_b32 v29, v[42:43], off offset:4
	s_wait_loadcnt 0x0
	v_mul_f32_e32 v38, v33, v29
	s_wait_xcnt 0x0
	s_delay_alu instid0(VALU_DEP_1)
	v_cmpx_neq_f32_e32 0, v38
	s_cbranch_execz .LBB6_124
; %bb.115:                              ;   in Loop: Header=BB6_114 Depth=4
	v_xor_b32_e32 v10, 0x80000000, v38
                                        ; implicit-def: $vgpr45
	s_mov_b32 s2, exec_lo
	v_cmpx_neq_f32_e32 0, v39
	s_xor_b32 s98, exec_lo, s2
	s_cbranch_execz .LBB6_121
; %bb.116:                              ;   in Loop: Header=BB6_114 Depth=4
	s_mov_b32 s99, exec_lo
                                        ; implicit-def: $vgpr45
	v_cmpx_ngt_f32_e64 |v38|, |v39|
	s_xor_b32 s99, exec_lo, s99
	s_cbranch_execz .LBB6_118
; %bb.117:                              ;   in Loop: Header=BB6_114 Depth=4
	v_div_scale_f32 v10, null, v39, v39, -v38
	v_div_scale_f32 v44, vcc_lo, -v38, v39, -v38
	s_delay_alu instid0(VALU_DEP_2) | instskip(SKIP_1) | instid1(TRANS32_DEP_1)
	v_rcp_f32_e32 v30, v10
	v_nop
	v_fma_f32 v33, -v10, v30, 1.0
	s_delay_alu instid0(VALU_DEP_1) | instskip(NEXT) | instid1(VALU_DEP_1)
	v_fmac_f32_e32 v30, v33, v30
	v_mul_f32_e32 v33, v44, v30
	s_delay_alu instid0(VALU_DEP_1) | instskip(NEXT) | instid1(VALU_DEP_1)
	v_fma_f32 v45, -v10, v33, v44
	v_fmac_f32_e32 v33, v45, v30
	s_delay_alu instid0(VALU_DEP_1) | instskip(NEXT) | instid1(VALU_DEP_1)
	v_fma_f32 v10, -v10, v33, v44
	v_div_fmas_f32 v10, v10, v30, v33
	s_delay_alu instid0(VALU_DEP_1) | instskip(NEXT) | instid1(VALU_DEP_1)
	v_div_fixup_f32 v10, v10, v39, -v38
	v_fma_f32 v30, v10, v10, 1.0
	s_delay_alu instid0(VALU_DEP_1) | instskip(SKIP_1) | instid1(VALU_DEP_2)
	v_mul_f32_e32 v33, 0x4f800000, v30
	v_cmp_gt_f32_e32 vcc_lo, 0xf800000, v30
	v_cndmask_b32_e32 v30, v30, v33, vcc_lo
	s_delay_alu instid0(VALU_DEP_1) | instskip(SKIP_1) | instid1(TRANS32_DEP_1)
	v_sqrt_f32_e32 v33, v30
	v_nop
	v_dual_add_nc_u32 v44, -1, v33 :: v_dual_add_nc_u32 v45, 1, v33
	s_delay_alu instid0(VALU_DEP_1) | instskip(NEXT) | instid1(VALU_DEP_1)
	v_dual_fma_f32 v46, -v44, v33, v30 :: v_dual_fma_f32 v47, -v45, v33, v30
	v_cmp_ge_f32_e64 s2, 0, v46
	s_delay_alu instid0(VALU_DEP_1) | instskip(NEXT) | instid1(VALU_DEP_3)
	v_cndmask_b32_e64 v33, v33, v44, s2
	v_cmp_lt_f32_e64 s2, 0, v47
	s_delay_alu instid0(VALU_DEP_1) | instskip(NEXT) | instid1(VALU_DEP_1)
	v_cndmask_b32_e64 v33, v33, v45, s2
	v_mul_f32_e32 v44, 0x37800000, v33
	s_delay_alu instid0(VALU_DEP_1) | instskip(SKIP_1) | instid1(VALU_DEP_2)
	v_cndmask_b32_e32 v33, v33, v44, vcc_lo
	v_cmp_class_f32_e64 vcc_lo, v30, 0x260
	v_cndmask_b32_e32 v30, v33, v30, vcc_lo
	s_delay_alu instid0(VALU_DEP_1) | instskip(NEXT) | instid1(VALU_DEP_1)
	v_div_scale_f32 v33, null, v30, v30, 1.0
	v_rcp_f32_e32 v44, v33
	v_nop
	s_delay_alu instid0(TRANS32_DEP_1) | instskip(NEXT) | instid1(VALU_DEP_1)
	v_fma_f32 v45, -v33, v44, 1.0
	v_fmac_f32_e32 v44, v45, v44
	v_div_scale_f32 v45, vcc_lo, 1.0, v30, 1.0
	s_delay_alu instid0(VALU_DEP_1) | instskip(NEXT) | instid1(VALU_DEP_1)
	v_mul_f32_e32 v46, v45, v44
	v_fma_f32 v47, -v33, v46, v45
	s_delay_alu instid0(VALU_DEP_1) | instskip(NEXT) | instid1(VALU_DEP_1)
	v_fmac_f32_e32 v46, v47, v44
	v_fma_f32 v33, -v33, v46, v45
	s_delay_alu instid0(VALU_DEP_1) | instskip(NEXT) | instid1(VALU_DEP_1)
	v_div_fmas_f32 v33, v33, v44, v46
	v_div_fixup_f32 v45, v33, v30, 1.0
	s_delay_alu instid0(VALU_DEP_1)
	v_mul_f32_e32 v44, v10, v45
.LBB6_118:                              ;   in Loop: Header=BB6_114 Depth=4
	s_and_not1_saveexec_b32 s99, s99
	s_cbranch_execz .LBB6_120
; %bb.119:                              ;   in Loop: Header=BB6_114 Depth=4
	v_div_scale_f32 v10, null, v38, v38, -v39
	v_div_scale_f32 v44, vcc_lo, -v39, v38, -v39
	s_delay_alu instid0(VALU_DEP_2) | instskip(SKIP_1) | instid1(TRANS32_DEP_1)
	v_rcp_f32_e32 v30, v10
	v_nop
	v_fma_f32 v33, -v10, v30, 1.0
	s_delay_alu instid0(VALU_DEP_1) | instskip(NEXT) | instid1(VALU_DEP_1)
	v_fmac_f32_e32 v30, v33, v30
	v_mul_f32_e32 v33, v44, v30
	s_delay_alu instid0(VALU_DEP_1) | instskip(NEXT) | instid1(VALU_DEP_1)
	v_fma_f32 v45, -v10, v33, v44
	v_fmac_f32_e32 v33, v45, v30
	s_delay_alu instid0(VALU_DEP_1) | instskip(NEXT) | instid1(VALU_DEP_1)
	v_fma_f32 v10, -v10, v33, v44
	v_div_fmas_f32 v10, v10, v30, v33
	s_delay_alu instid0(VALU_DEP_1) | instskip(NEXT) | instid1(VALU_DEP_1)
	v_div_fixup_f32 v10, v10, v38, -v39
	v_fma_f32 v30, v10, v10, 1.0
	s_delay_alu instid0(VALU_DEP_1) | instskip(SKIP_1) | instid1(VALU_DEP_2)
	v_mul_f32_e32 v33, 0x4f800000, v30
	v_cmp_gt_f32_e32 vcc_lo, 0xf800000, v30
	v_cndmask_b32_e32 v30, v30, v33, vcc_lo
	s_delay_alu instid0(VALU_DEP_1) | instskip(SKIP_1) | instid1(TRANS32_DEP_1)
	v_sqrt_f32_e32 v33, v30
	v_nop
	v_dual_add_nc_u32 v44, -1, v33 :: v_dual_add_nc_u32 v45, 1, v33
	s_delay_alu instid0(VALU_DEP_1) | instskip(NEXT) | instid1(VALU_DEP_1)
	v_dual_fma_f32 v46, -v44, v33, v30 :: v_dual_fma_f32 v47, -v45, v33, v30
	v_cmp_ge_f32_e64 s2, 0, v46
	s_delay_alu instid0(VALU_DEP_1) | instskip(NEXT) | instid1(VALU_DEP_3)
	v_cndmask_b32_e64 v33, v33, v44, s2
	v_cmp_lt_f32_e64 s2, 0, v47
	s_delay_alu instid0(VALU_DEP_1) | instskip(NEXT) | instid1(VALU_DEP_1)
	v_cndmask_b32_e64 v33, v33, v45, s2
	v_mul_f32_e32 v44, 0x37800000, v33
	s_delay_alu instid0(VALU_DEP_1) | instskip(SKIP_1) | instid1(VALU_DEP_2)
	v_cndmask_b32_e32 v33, v33, v44, vcc_lo
	v_cmp_class_f32_e64 vcc_lo, v30, 0x260
	v_cndmask_b32_e32 v30, v33, v30, vcc_lo
	s_delay_alu instid0(VALU_DEP_1) | instskip(NEXT) | instid1(VALU_DEP_1)
	v_div_scale_f32 v33, null, v30, v30, 1.0
	v_rcp_f32_e32 v44, v33
	v_nop
	s_delay_alu instid0(TRANS32_DEP_1) | instskip(NEXT) | instid1(VALU_DEP_1)
	v_fma_f32 v45, -v33, v44, 1.0
	v_fmac_f32_e32 v44, v45, v44
	v_div_scale_f32 v45, vcc_lo, 1.0, v30, 1.0
	s_delay_alu instid0(VALU_DEP_1) | instskip(NEXT) | instid1(VALU_DEP_1)
	v_mul_f32_e32 v46, v45, v44
	v_fma_f32 v47, -v33, v46, v45
	s_delay_alu instid0(VALU_DEP_1) | instskip(NEXT) | instid1(VALU_DEP_1)
	v_fmac_f32_e32 v46, v47, v44
	v_fma_f32 v33, -v33, v46, v45
	s_delay_alu instid0(VALU_DEP_1) | instskip(NEXT) | instid1(VALU_DEP_1)
	v_div_fmas_f32 v33, v33, v44, v46
	v_div_fixup_f32 v44, v33, v30, 1.0
	s_delay_alu instid0(VALU_DEP_1)
	v_mul_f32_e32 v45, v10, v44
.LBB6_120:                              ;   in Loop: Header=BB6_114 Depth=4
	s_or_b32 exec_lo, exec_lo, s99
	s_delay_alu instid0(VALU_DEP_1) | instskip(NEXT) | instid1(VALU_DEP_1)
	v_pk_mul_f32 v[38:39], v[38:39], v[44:45]
	v_sub_f32_e32 v10, v39, v38
.LBB6_121:                              ;   in Loop: Header=BB6_114 Depth=4
	s_and_not1_saveexec_b32 s2, s98
; %bb.122:                              ;   in Loop: Header=BB6_114 Depth=4
	v_dual_mov_b32 v44, 1.0 :: v_dual_mov_b32 v45, 0
; %bb.123:                              ;   in Loop: Header=BB6_114 Depth=4
	s_or_b32 exec_lo, exec_lo, s2
	s_delay_alu instid0(VALU_DEP_2)
	v_mov_b32_e32 v39, v10
.LBB6_124:                              ;   in Loop: Header=BB6_114 Depth=4
	s_or_b32 exec_lo, exec_lo, s97
	s_cmp_eq_u32 s96, 0
	s_cbranch_scc1 .LBB6_113
; %bb.125:                              ;   in Loop: Header=BB6_114 Depth=4
	global_store_b32 v[42:43], v39, off
	s_branch .LBB6_113
.LBB6_126:                              ;   in Loop: Header=BB6_87 Depth=3
	ds_store_2addr_b32 v3, v32, v28 offset0:1 offset1:4
	s_cbranch_execz .LBB6_99
	s_branch .LBB6_100
.LBB6_127:                              ;   in Loop: Header=BB6_87 Depth=3
	s_or_b32 exec_lo, exec_lo, s93
	ds_store_b32 v3, v2 offset:8
.LBB6_128:                              ;   in Loop: Header=BB6_87 Depth=3
	s_or_b32 exec_lo, exec_lo, s92
	global_load_b32 v30, v[34:35], off
.LBB6_129:                              ;   in Loop: Header=BB6_87 Depth=3
	s_wait_xcnt 0x0
	s_or_b32 exec_lo, exec_lo, s51
	s_wait_loadcnt 0x0
	v_sub_f32_e32 v2, v30, v2
                                        ; implicit-def: $vgpr32
                                        ; implicit-def: $vgpr28
                                        ; implicit-def: $vgpr30
	global_store_b32 v[34:35], v2, off
	global_store_b32 v[36:37], v39, off offset:-4
                                        ; implicit-def: $vgpr34_vgpr35
                                        ; implicit-def: $vgpr36_vgpr37
.LBB6_130:                              ;   in Loop: Header=BB6_87 Depth=3
	s_wait_xcnt 0x0
	s_and_not1_saveexec_b32 s51, s3
	s_cbranch_execz .LBB6_163
; %bb.131:                              ;   in Loop: Header=BB6_87 Depth=3
	s_clause 0x1
	global_load_b32 v33, v32, s[60:61] scale_offset
	global_load_b32 v31, v32, s[58:59] scale_offset
	s_mov_b32 s3, exec_lo
                                        ; implicit-def: $vgpr2
	s_wait_loadcnt 0x0
	v_dual_add_f32 v10, v33, v33 :: v_dual_sub_f32 v29, v31, v30
	s_delay_alu instid0(VALU_DEP_1) | instskip(SKIP_1) | instid1(VALU_DEP_2)
	v_and_b32_e32 v38, 0x7fffffff, v10
	s_wait_xcnt 0x0
	v_cmpx_ngt_f32_e64 |v29|, |v10|
	s_xor_b32 s3, exec_lo, s3
	s_cbranch_execz .LBB6_137
; %bb.132:                              ;   in Loop: Header=BB6_87 Depth=3
	v_cmp_nlt_f32_e64 s2, |v29|, |v10|
                                        ; implicit-def: $vgpr2
	s_and_saveexec_b32 s84, s2
	s_delay_alu instid0(SALU_CYCLE_1)
	s_xor_b32 s2, exec_lo, s84
	s_cbranch_execz .LBB6_134
; %bb.133:                              ;   in Loop: Header=BB6_87 Depth=3
	v_cvt_f64_f32_e32 v[38:39], v38
	s_delay_alu instid0(VALU_DEP_1) | instskip(NEXT) | instid1(VALU_DEP_1)
	v_mul_f64_e32 v[38:39], 0x3ff6a09e667f3bcd, v[38:39]
	v_cvt_f32_f64_e32 v2, v[38:39]
                                        ; implicit-def: $vgpr38
.LBB6_134:                              ;   in Loop: Header=BB6_87 Depth=3
	s_and_not1_saveexec_b32 s84, s2
	s_cbranch_execz .LBB6_136
; %bb.135:                              ;   in Loop: Header=BB6_87 Depth=3
	v_and_b32_e32 v2, 0x7fffffff, v29
	s_delay_alu instid0(VALU_DEP_1) | instskip(SKIP_1) | instid1(VALU_DEP_2)
	v_div_scale_f32 v39, null, v38, v38, v2
	v_div_scale_f32 v2, vcc_lo, v2, v38, v2
	v_rcp_f32_e32 v40, v39
	v_nop
	s_delay_alu instid0(TRANS32_DEP_1) | instskip(NEXT) | instid1(VALU_DEP_1)
	v_fma_f32 v41, -v39, v40, 1.0
	v_fmac_f32_e32 v40, v41, v40
	s_delay_alu instid0(VALU_DEP_1) | instskip(NEXT) | instid1(VALU_DEP_1)
	v_mul_f32_e32 v38, v2, v40
	v_fma_f32 v41, -v39, v38, v2
	s_delay_alu instid0(VALU_DEP_1) | instskip(NEXT) | instid1(VALU_DEP_1)
	v_fmac_f32_e32 v38, v41, v40
	v_fma_f32 v2, -v39, v38, v2
	s_delay_alu instid0(VALU_DEP_1) | instskip(NEXT) | instid1(VALU_DEP_1)
	v_div_fmas_f32 v2, v2, v40, v38
	v_div_fixup_f32 v2, v2, |v10|, |v29|
	s_delay_alu instid0(VALU_DEP_1) | instskip(NEXT) | instid1(VALU_DEP_1)
	v_fma_f32 v2, v2, v2, 1.0
	v_mul_f32_e32 v38, 0x4f800000, v2
	v_cmp_gt_f32_e32 vcc_lo, 0xf800000, v2
	s_delay_alu instid0(VALU_DEP_2) | instskip(NEXT) | instid1(VALU_DEP_1)
	v_cndmask_b32_e32 v2, v2, v38, vcc_lo
	v_sqrt_f32_e32 v38, v2
	v_nop
	s_delay_alu instid0(TRANS32_DEP_1) | instskip(NEXT) | instid1(VALU_DEP_1)
	v_dual_add_nc_u32 v39, -1, v38 :: v_dual_add_nc_u32 v40, 1, v38
	v_dual_fma_f32 v41, -v39, v38, v2 :: v_dual_fma_f32 v42, -v40, v38, v2
	s_delay_alu instid0(VALU_DEP_1) | instskip(NEXT) | instid1(VALU_DEP_1)
	v_cmp_ge_f32_e64 s2, 0, v41
	v_cndmask_b32_e64 v38, v38, v39, s2
	s_delay_alu instid0(VALU_DEP_3) | instskip(NEXT) | instid1(VALU_DEP_1)
	v_cmp_lt_f32_e64 s2, 0, v42
	v_cndmask_b32_e64 v38, v38, v40, s2
	s_delay_alu instid0(VALU_DEP_1) | instskip(NEXT) | instid1(VALU_DEP_1)
	v_mul_f32_e32 v39, 0x37800000, v38
	v_cndmask_b32_e32 v38, v38, v39, vcc_lo
	v_cmp_class_f32_e64 vcc_lo, v2, 0x260
	s_delay_alu instid0(VALU_DEP_2) | instskip(NEXT) | instid1(VALU_DEP_1)
	v_cndmask_b32_e32 v2, v38, v2, vcc_lo
	v_mul_f32_e64 v2, |v10|, v2
.LBB6_136:                              ;   in Loop: Header=BB6_87 Depth=3
	s_or_b32 exec_lo, exec_lo, s84
                                        ; implicit-def: $vgpr38
.LBB6_137:                              ;   in Loop: Header=BB6_87 Depth=3
	s_and_not1_saveexec_b32 s3, s3
	s_cbranch_execz .LBB6_139
; %bb.138:                              ;   in Loop: Header=BB6_87 Depth=3
	v_and_b32_e32 v2, 0x7fffffff, v29
	s_delay_alu instid0(VALU_DEP_1) | instskip(SKIP_1) | instid1(VALU_DEP_2)
	v_div_scale_f32 v39, null, v2, v2, v38
	v_div_scale_f32 v2, vcc_lo, v38, v2, v38
	v_rcp_f32_e32 v40, v39
	v_nop
	s_delay_alu instid0(TRANS32_DEP_1) | instskip(NEXT) | instid1(VALU_DEP_1)
	v_fma_f32 v41, -v39, v40, 1.0
	v_fmac_f32_e32 v40, v41, v40
	s_delay_alu instid0(VALU_DEP_1) | instskip(NEXT) | instid1(VALU_DEP_1)
	v_mul_f32_e32 v38, v2, v40
	v_fma_f32 v41, -v39, v38, v2
	s_delay_alu instid0(VALU_DEP_1) | instskip(NEXT) | instid1(VALU_DEP_1)
	v_fmac_f32_e32 v38, v41, v40
	v_fma_f32 v2, -v39, v38, v2
	s_delay_alu instid0(VALU_DEP_1) | instskip(NEXT) | instid1(VALU_DEP_1)
	v_div_fmas_f32 v2, v2, v40, v38
	v_div_fixup_f32 v2, v2, |v29|, |v10|
	s_delay_alu instid0(VALU_DEP_1) | instskip(NEXT) | instid1(VALU_DEP_1)
	v_fma_f32 v2, v2, v2, 1.0
	v_mul_f32_e32 v38, 0x4f800000, v2
	v_cmp_gt_f32_e32 vcc_lo, 0xf800000, v2
	s_delay_alu instid0(VALU_DEP_2) | instskip(NEXT) | instid1(VALU_DEP_1)
	v_cndmask_b32_e32 v2, v2, v38, vcc_lo
	v_sqrt_f32_e32 v38, v2
	v_nop
	s_delay_alu instid0(TRANS32_DEP_1) | instskip(NEXT) | instid1(VALU_DEP_1)
	v_dual_add_nc_u32 v39, -1, v38 :: v_dual_add_nc_u32 v40, 1, v38
	v_dual_fma_f32 v41, -v39, v38, v2 :: v_dual_fma_f32 v42, -v40, v38, v2
	s_delay_alu instid0(VALU_DEP_1) | instskip(NEXT) | instid1(VALU_DEP_1)
	v_cmp_ge_f32_e64 s2, 0, v41
	v_cndmask_b32_e64 v38, v38, v39, s2
	s_delay_alu instid0(VALU_DEP_3) | instskip(NEXT) | instid1(VALU_DEP_1)
	v_cmp_lt_f32_e64 s2, 0, v42
	v_cndmask_b32_e64 v38, v38, v40, s2
	s_delay_alu instid0(VALU_DEP_1) | instskip(NEXT) | instid1(VALU_DEP_1)
	v_mul_f32_e32 v39, 0x37800000, v38
	v_cndmask_b32_e32 v38, v38, v39, vcc_lo
	v_cmp_class_f32_e64 vcc_lo, v2, 0x260
	s_delay_alu instid0(VALU_DEP_2) | instskip(NEXT) | instid1(VALU_DEP_1)
	v_cndmask_b32_e32 v2, v38, v2, vcc_lo
	v_mul_f32_e64 v2, |v29|, v2
.LBB6_139:                              ;   in Loop: Header=BB6_87 Depth=3
	s_or_b32 exec_lo, exec_lo, s3
	v_cmp_gt_f32_e64 vcc_lo, |v31|, |v30|
	v_add_f32_e32 v40, v30, v31
	s_mov_b32 s2, exec_lo
	v_dual_cndmask_b32 v39, v31, v30, vcc_lo :: v_dual_cndmask_b32 v41, v30, v31, vcc_lo
                                        ; implicit-def: $vgpr30_vgpr31
	s_delay_alu instid0(VALU_DEP_2)
	v_cmpx_ngt_f32_e32 0, v40
	s_xor_b32 s3, exec_lo, s2
	s_cbranch_execz .LBB6_145
; %bb.140:                              ;   in Loop: Header=BB6_87 Depth=3
	s_mov_b32 s2, exec_lo
                                        ; implicit-def: $vgpr30_vgpr31
	v_cmpx_nlt_f32_e32 0, v40
	s_xor_b32 s2, exec_lo, s2
; %bb.141:                              ;   in Loop: Header=BB6_87 Depth=3
	v_pk_mul_f32 v[30:31], v[2:3], v[8:9] op_sel_hi:[0,1]
                                        ; implicit-def: $vgpr40
                                        ; implicit-def: $vgpr41
                                        ; implicit-def: $vgpr39
                                        ; implicit-def: $vgpr33
; %bb.142:                              ;   in Loop: Header=BB6_87 Depth=3
	s_and_not1_saveexec_b32 s84, s2
	s_cbranch_execz .LBB6_144
; %bb.143:                              ;   in Loop: Header=BB6_87 Depth=3
	v_add_f32_e32 v30, v40, v2
	v_cvt_f64_f32_e32 v[40:41], v41
	v_cvt_f64_f32_e32 v[44:45], v33
	;; [unrolled: 1-line block ×3, first 2 shown]
	s_delay_alu instid0(VALU_DEP_4) | instskip(NEXT) | instid1(VALU_DEP_1)
	v_mul_f32_e32 v30, 0.5, v30
	v_cvt_f64_f32_e32 v[42:43], v30
	s_delay_alu instid0(VALU_DEP_1) | instskip(SKIP_2) | instid1(VALU_DEP_3)
	v_div_scale_f64 v[46:47], null, v[42:43], v[42:43], v[40:41]
	v_div_scale_f64 v[48:49], null, v[42:43], v[42:43], v[44:45]
	v_div_scale_f64 v[60:61], vcc_lo, v[40:41], v[42:43], v[40:41]
	v_rcp_f64_e32 v[50:51], v[46:47]
	s_delay_alu instid0(VALU_DEP_2) | instskip(NEXT) | instid1(TRANS32_DEP_2)
	v_rcp_f64_e32 v[52:53], v[48:49]
	v_fma_f64 v[56:57], -v[46:47], v[50:51], 1.0
	s_delay_alu instid0(TRANS32_DEP_1) | instskip(NEXT) | instid1(VALU_DEP_2)
	v_fma_f64 v[58:59], -v[48:49], v[52:53], 1.0
	v_fmac_f64_e32 v[50:51], v[50:51], v[56:57]
	s_delay_alu instid0(VALU_DEP_2) | instskip(NEXT) | instid1(VALU_DEP_2)
	v_fmac_f64_e32 v[52:53], v[52:53], v[58:59]
	v_fma_f64 v[56:57], -v[46:47], v[50:51], 1.0
	s_delay_alu instid0(VALU_DEP_2) | instskip(NEXT) | instid1(VALU_DEP_2)
	v_fma_f64 v[58:59], -v[48:49], v[52:53], 1.0
	v_fmac_f64_e32 v[50:51], v[50:51], v[56:57]
	v_div_scale_f64 v[56:57], s2, v[44:45], v[42:43], v[44:45]
	s_delay_alu instid0(VALU_DEP_3) | instskip(NEXT) | instid1(VALU_DEP_3)
	v_fmac_f64_e32 v[52:53], v[52:53], v[58:59]
	v_mul_f64_e32 v[58:59], v[60:61], v[50:51]
	s_delay_alu instid0(VALU_DEP_2) | instskip(NEXT) | instid1(VALU_DEP_2)
	v_mul_f64_e32 v[62:63], v[56:57], v[52:53]
	v_fma_f64 v[46:47], -v[46:47], v[58:59], v[60:61]
	s_delay_alu instid0(VALU_DEP_2) | instskip(NEXT) | instid1(VALU_DEP_2)
	v_fma_f64 v[48:49], -v[48:49], v[62:63], v[56:57]
	v_div_fmas_f64 v[46:47], v[46:47], v[50:51], v[58:59]
	s_mov_b32 vcc_lo, s2
	s_delay_alu instid0(VALU_DEP_2) | instskip(NEXT) | instid1(VALU_DEP_2)
	v_div_fmas_f64 v[48:49], v[48:49], v[52:53], v[62:63]
	v_div_fixup_f64 v[40:41], v[46:47], v[42:43], v[40:41]
	s_delay_alu instid0(VALU_DEP_2) | instskip(NEXT) | instid1(VALU_DEP_1)
	v_div_fixup_f64 v[48:49], v[48:49], v[42:43], v[44:45]
	v_mul_f64_e32 v[42:43], v[48:49], v[44:45]
	s_delay_alu instid0(VALU_DEP_1) | instskip(NEXT) | instid1(VALU_DEP_1)
	v_fma_f64 v[38:39], v[40:41], v[38:39], -v[42:43]
	v_cvt_f32_f64_e32 v31, v[38:39]
.LBB6_144:                              ;   in Loop: Header=BB6_87 Depth=3
	s_or_b32 exec_lo, exec_lo, s84
                                        ; implicit-def: $vgpr40
                                        ; implicit-def: $vgpr41
                                        ; implicit-def: $vgpr39
                                        ; implicit-def: $vgpr33
.LBB6_145:                              ;   in Loop: Header=BB6_87 Depth=3
	s_or_saveexec_b32 s3, s3
	v_mov_b32_e32 v38, 1
	s_xor_b32 exec_lo, exec_lo, s3
	s_cbranch_execz .LBB6_147
; %bb.146:                              ;   in Loop: Header=BB6_87 Depth=3
	v_sub_f32_e32 v30, v40, v2
	v_cvt_f64_f32_e32 v[40:41], v41
	v_cvt_f64_f32_e32 v[44:45], v33
	v_cvt_f64_f32_e32 v[38:39], v39
	s_delay_alu instid0(VALU_DEP_4) | instskip(NEXT) | instid1(VALU_DEP_1)
	v_mul_f32_e32 v30, 0.5, v30
	v_cvt_f64_f32_e32 v[42:43], v30
	s_delay_alu instid0(VALU_DEP_1) | instskip(SKIP_2) | instid1(VALU_DEP_3)
	v_div_scale_f64 v[46:47], null, v[42:43], v[42:43], v[40:41]
	v_div_scale_f64 v[48:49], null, v[42:43], v[42:43], v[44:45]
	v_div_scale_f64 v[60:61], vcc_lo, v[40:41], v[42:43], v[40:41]
	v_rcp_f64_e32 v[50:51], v[46:47]
	s_delay_alu instid0(VALU_DEP_2) | instskip(NEXT) | instid1(TRANS32_DEP_2)
	v_rcp_f64_e32 v[52:53], v[48:49]
	v_fma_f64 v[56:57], -v[46:47], v[50:51], 1.0
	s_delay_alu instid0(TRANS32_DEP_1) | instskip(NEXT) | instid1(VALU_DEP_2)
	v_fma_f64 v[58:59], -v[48:49], v[52:53], 1.0
	v_fmac_f64_e32 v[50:51], v[50:51], v[56:57]
	s_delay_alu instid0(VALU_DEP_2) | instskip(NEXT) | instid1(VALU_DEP_2)
	v_fmac_f64_e32 v[52:53], v[52:53], v[58:59]
	v_fma_f64 v[56:57], -v[46:47], v[50:51], 1.0
	s_delay_alu instid0(VALU_DEP_2) | instskip(NEXT) | instid1(VALU_DEP_2)
	v_fma_f64 v[58:59], -v[48:49], v[52:53], 1.0
	v_fmac_f64_e32 v[50:51], v[50:51], v[56:57]
	v_div_scale_f64 v[56:57], s2, v[44:45], v[42:43], v[44:45]
	s_delay_alu instid0(VALU_DEP_3) | instskip(NEXT) | instid1(VALU_DEP_3)
	v_fmac_f64_e32 v[52:53], v[52:53], v[58:59]
	v_mul_f64_e32 v[58:59], v[60:61], v[50:51]
	s_delay_alu instid0(VALU_DEP_2) | instskip(NEXT) | instid1(VALU_DEP_2)
	v_mul_f64_e32 v[62:63], v[56:57], v[52:53]
	v_fma_f64 v[46:47], -v[46:47], v[58:59], v[60:61]
	s_delay_alu instid0(VALU_DEP_2) | instskip(NEXT) | instid1(VALU_DEP_2)
	v_fma_f64 v[48:49], -v[48:49], v[62:63], v[56:57]
	v_div_fmas_f64 v[46:47], v[46:47], v[50:51], v[58:59]
	s_mov_b32 vcc_lo, s2
	s_delay_alu instid0(VALU_DEP_2) | instskip(NEXT) | instid1(VALU_DEP_2)
	v_div_fmas_f64 v[48:49], v[48:49], v[52:53], v[62:63]
	v_div_fixup_f64 v[40:41], v[46:47], v[42:43], v[40:41]
	s_delay_alu instid0(VALU_DEP_2) | instskip(NEXT) | instid1(VALU_DEP_1)
	v_div_fixup_f64 v[48:49], v[48:49], v[42:43], v[44:45]
	v_mul_f64_e32 v[42:43], v[48:49], v[44:45]
	s_delay_alu instid0(VALU_DEP_1) | instskip(NEXT) | instid1(VALU_DEP_1)
	v_fma_f64 v[38:39], v[40:41], v[38:39], -v[42:43]
	v_cvt_f32_f64_e32 v31, v[38:39]
	v_mov_b32_e32 v38, -1
.LBB6_147:                              ;   in Loop: Header=BB6_87 Depth=3
	s_or_b32 exec_lo, exec_lo, s3
	v_cmp_nle_f32_e64 s2, 0, v29
	s_mov_b32 s84, exec_lo
                                        ; implicit-def: $vgpr39
	v_cndmask_b32_e64 v2, v2, -v2, s2
	s_delay_alu instid0(VALU_DEP_1) | instskip(NEXT) | instid1(VALU_DEP_1)
	v_add_f32_e32 v2, v29, v2
                                        ; implicit-def: $vgpr29
	v_cmpx_ngt_f32_e64 |v2|, |v10|
	s_xor_b32 s84, exec_lo, s84
	s_cbranch_execz .LBB6_151
; %bb.148:                              ;   in Loop: Header=BB6_87 Depth=3
	v_dual_mov_b32 v29, 0 :: v_dual_mov_b32 v39, 1.0
	s_mov_b32 s85, exec_lo
	v_cmpx_neq_f32_e32 0, v10
	s_cbranch_execz .LBB6_150
; %bb.149:                              ;   in Loop: Header=BB6_87 Depth=3
	v_div_scale_f32 v29, null, v10, v10, -v2
	v_div_scale_f32 v40, vcc_lo, -v2, v10, -v2
	s_delay_alu instid0(VALU_DEP_2) | instskip(SKIP_1) | instid1(TRANS32_DEP_1)
	v_rcp_f32_e32 v33, v29
	v_nop
	v_fma_f32 v39, -v29, v33, 1.0
	s_delay_alu instid0(VALU_DEP_1) | instskip(NEXT) | instid1(VALU_DEP_1)
	v_fmac_f32_e32 v33, v39, v33
	v_mul_f32_e32 v39, v40, v33
	s_delay_alu instid0(VALU_DEP_1) | instskip(NEXT) | instid1(VALU_DEP_1)
	v_fma_f32 v41, -v29, v39, v40
	v_fmac_f32_e32 v39, v41, v33
	s_delay_alu instid0(VALU_DEP_1) | instskip(NEXT) | instid1(VALU_DEP_1)
	v_fma_f32 v29, -v29, v39, v40
	v_div_fmas_f32 v29, v29, v33, v39
	s_delay_alu instid0(VALU_DEP_1) | instskip(NEXT) | instid1(VALU_DEP_1)
	v_div_fixup_f32 v2, v29, v10, -v2
	v_fma_f32 v10, v2, v2, 1.0
	s_delay_alu instid0(VALU_DEP_1) | instskip(SKIP_1) | instid1(VALU_DEP_2)
	v_mul_f32_e32 v29, 0x4f800000, v10
	v_cmp_gt_f32_e32 vcc_lo, 0xf800000, v10
	v_cndmask_b32_e32 v10, v10, v29, vcc_lo
	s_delay_alu instid0(VALU_DEP_1) | instskip(SKIP_1) | instid1(TRANS32_DEP_1)
	v_sqrt_f32_e32 v29, v10
	v_nop
	v_dual_add_nc_u32 v33, -1, v29 :: v_dual_add_nc_u32 v39, 1, v29
	s_delay_alu instid0(VALU_DEP_1) | instskip(NEXT) | instid1(VALU_DEP_1)
	v_dual_fma_f32 v40, -v33, v29, v10 :: v_dual_fma_f32 v41, -v39, v29, v10
	v_cmp_ge_f32_e64 s3, 0, v40
	s_delay_alu instid0(VALU_DEP_1) | instskip(NEXT) | instid1(VALU_DEP_3)
	v_cndmask_b32_e64 v29, v29, v33, s3
	v_cmp_lt_f32_e64 s3, 0, v41
	s_delay_alu instid0(VALU_DEP_1) | instskip(NEXT) | instid1(VALU_DEP_1)
	v_cndmask_b32_e64 v29, v29, v39, s3
	v_mul_f32_e32 v33, 0x37800000, v29
	s_delay_alu instid0(VALU_DEP_1) | instskip(SKIP_1) | instid1(VALU_DEP_2)
	v_cndmask_b32_e32 v29, v29, v33, vcc_lo
	v_cmp_class_f32_e64 vcc_lo, v10, 0x260
	v_cndmask_b32_e32 v10, v29, v10, vcc_lo
	s_delay_alu instid0(VALU_DEP_1) | instskip(NEXT) | instid1(VALU_DEP_1)
	v_div_scale_f32 v29, null, v10, v10, 1.0
	v_rcp_f32_e32 v33, v29
	v_nop
	s_delay_alu instid0(TRANS32_DEP_1) | instskip(NEXT) | instid1(VALU_DEP_1)
	v_fma_f32 v39, -v29, v33, 1.0
	v_fmac_f32_e32 v33, v39, v33
	v_div_scale_f32 v39, vcc_lo, 1.0, v10, 1.0
	s_delay_alu instid0(VALU_DEP_1) | instskip(NEXT) | instid1(VALU_DEP_1)
	v_mul_f32_e32 v40, v39, v33
	v_fma_f32 v41, -v29, v40, v39
	s_delay_alu instid0(VALU_DEP_1) | instskip(NEXT) | instid1(VALU_DEP_1)
	v_fmac_f32_e32 v40, v41, v33
	v_fma_f32 v29, -v29, v40, v39
	s_delay_alu instid0(VALU_DEP_1) | instskip(NEXT) | instid1(VALU_DEP_1)
	v_div_fmas_f32 v29, v29, v33, v40
	v_div_fixup_f32 v39, v29, v10, 1.0
	s_delay_alu instid0(VALU_DEP_1)
	v_mul_f32_e32 v29, v2, v39
.LBB6_150:                              ;   in Loop: Header=BB6_87 Depth=3
	s_or_b32 exec_lo, exec_lo, s85
                                        ; implicit-def: $vgpr2
                                        ; implicit-def: $vgpr10
.LBB6_151:                              ;   in Loop: Header=BB6_87 Depth=3
	s_and_not1_saveexec_b32 s84, s84
	s_cbranch_execz .LBB6_153
; %bb.152:                              ;   in Loop: Header=BB6_87 Depth=3
	v_div_scale_f32 v29, null, v2, v2, -v10
	v_div_scale_f32 v40, vcc_lo, -v10, v2, -v10
	s_delay_alu instid0(VALU_DEP_2) | instskip(SKIP_1) | instid1(TRANS32_DEP_1)
	v_rcp_f32_e32 v33, v29
	v_nop
	v_fma_f32 v39, -v29, v33, 1.0
	s_delay_alu instid0(VALU_DEP_1) | instskip(NEXT) | instid1(VALU_DEP_1)
	v_fmac_f32_e32 v33, v39, v33
	v_mul_f32_e32 v39, v40, v33
	s_delay_alu instid0(VALU_DEP_1) | instskip(NEXT) | instid1(VALU_DEP_1)
	v_fma_f32 v41, -v29, v39, v40
	v_fmac_f32_e32 v39, v41, v33
	s_delay_alu instid0(VALU_DEP_1) | instskip(NEXT) | instid1(VALU_DEP_1)
	v_fma_f32 v29, -v29, v39, v40
	v_div_fmas_f32 v29, v29, v33, v39
	s_delay_alu instid0(VALU_DEP_1) | instskip(NEXT) | instid1(VALU_DEP_1)
	v_div_fixup_f32 v2, v29, v2, -v10
	v_fma_f32 v10, v2, v2, 1.0
	s_delay_alu instid0(VALU_DEP_1) | instskip(SKIP_1) | instid1(VALU_DEP_2)
	v_mul_f32_e32 v29, 0x4f800000, v10
	v_cmp_gt_f32_e32 vcc_lo, 0xf800000, v10
	v_cndmask_b32_e32 v10, v10, v29, vcc_lo
	s_delay_alu instid0(VALU_DEP_1) | instskip(SKIP_1) | instid1(TRANS32_DEP_1)
	v_sqrt_f32_e32 v29, v10
	v_nop
	v_dual_add_nc_u32 v33, -1, v29 :: v_dual_add_nc_u32 v39, 1, v29
	s_delay_alu instid0(VALU_DEP_1) | instskip(NEXT) | instid1(VALU_DEP_1)
	v_dual_fma_f32 v40, -v33, v29, v10 :: v_dual_fma_f32 v41, -v39, v29, v10
	v_cmp_ge_f32_e64 s3, 0, v40
	s_delay_alu instid0(VALU_DEP_1) | instskip(NEXT) | instid1(VALU_DEP_3)
	v_cndmask_b32_e64 v29, v29, v33, s3
	v_cmp_lt_f32_e64 s3, 0, v41
	s_delay_alu instid0(VALU_DEP_1) | instskip(NEXT) | instid1(VALU_DEP_1)
	v_cndmask_b32_e64 v29, v29, v39, s3
	v_mul_f32_e32 v33, 0x37800000, v29
	s_delay_alu instid0(VALU_DEP_1) | instskip(SKIP_1) | instid1(VALU_DEP_2)
	v_cndmask_b32_e32 v29, v29, v33, vcc_lo
	v_cmp_class_f32_e64 vcc_lo, v10, 0x260
	v_cndmask_b32_e32 v10, v29, v10, vcc_lo
	s_delay_alu instid0(VALU_DEP_1) | instskip(NEXT) | instid1(VALU_DEP_1)
	v_div_scale_f32 v29, null, v10, v10, 1.0
	v_rcp_f32_e32 v33, v29
	v_nop
	s_delay_alu instid0(TRANS32_DEP_1) | instskip(NEXT) | instid1(VALU_DEP_1)
	v_fma_f32 v39, -v29, v33, 1.0
	v_fmac_f32_e32 v33, v39, v33
	v_div_scale_f32 v39, vcc_lo, 1.0, v10, 1.0
	s_delay_alu instid0(VALU_DEP_1) | instskip(NEXT) | instid1(VALU_DEP_1)
	v_mul_f32_e32 v40, v39, v33
	v_fma_f32 v41, -v29, v40, v39
	s_delay_alu instid0(VALU_DEP_1) | instskip(NEXT) | instid1(VALU_DEP_1)
	v_fmac_f32_e32 v40, v41, v33
	v_fma_f32 v29, -v29, v40, v39
	s_delay_alu instid0(VALU_DEP_1) | instskip(NEXT) | instid1(VALU_DEP_1)
	v_div_fmas_f32 v29, v29, v33, v40
	v_div_fixup_f32 v29, v29, v10, 1.0
	s_delay_alu instid0(VALU_DEP_1)
	v_mul_f32_e32 v39, v2, v29
.LBB6_153:                              ;   in Loop: Header=BB6_87 Depth=3
	s_or_b32 exec_lo, exec_lo, s84
	v_cndmask_b32_e64 v2, 1, -1, s2
	v_lshl_add_u64 v[36:37], v[36:37], 2, s[60:61]
	v_add_nc_u32_e32 v28, -2, v28
	s_delay_alu instid0(VALU_DEP_3) | instskip(SKIP_1) | instid1(VALU_DEP_1)
	v_cmp_eq_u32_e32 vcc_lo, v38, v2
	v_dual_ashrrev_i32 v33, 31, v32 :: v_dual_cndmask_b32 v2, v39, -v29, vcc_lo
	v_lshl_add_u64 v[32:33], v[32:33], 2, s[64:65]
	v_cndmask_b32_e32 v10, v29, v39, vcc_lo
	s_delay_alu instid0(VALU_DEP_2)
	v_lshl_add_u64 v[38:39], s[54:55], 2, v[32:33]
	s_clause 0x1
	global_store_b32 v[32:33], v2, off
	global_store_b32 v[38:39], v10, off offset:-4
	global_store_b64 v[34:35], v[30:31], off offset:-4
	global_store_b32 v[36:37], v3, off offset:-4
	ds_store_b32 v3, v28
	s_wait_xcnt 0x0
	s_or_b32 exec_lo, exec_lo, s51
                                        ; implicit-def: $vgpr2
.LBB6_154:                              ;   in Loop: Header=BB6_87 Depth=3
	s_and_not1_saveexec_b32 s2, s27
.LBB6_155:                              ;   in Loop: Header=BB6_87 Depth=3
	ds_store_b32 v3, v2
.LBB6_156:                              ;   in Loop: Header=BB6_87 Depth=3
	s_or_b32 exec_lo, exec_lo, s2
.LBB6_157:                              ;   in Loop: Header=BB6_87 Depth=3
	s_delay_alu instid0(SALU_CYCLE_1)
	s_or_b32 exec_lo, exec_lo, s4
	s_wait_storecnt_dscnt 0x0
	s_barrier_signal -1
	s_barrier_wait -1
	ds_load_b64 v[28:29], v3
	s_wait_dscnt 0x0
	v_readfirstlane_b32 s84, v29
	s_delay_alu instid0(VALU_DEP_1)
	v_cmp_eq_u32_e32 vcc_lo, s84, v28
	v_mov_b32_e32 v28, s84
	s_cbranch_vccnz .LBB6_86
; %bb.158:                              ;   in Loop: Header=BB6_87 Depth=3
	s_and_saveexec_b32 s4, s1
	s_cbranch_execz .LBB6_85
; %bb.159:                              ;   in Loop: Header=BB6_87 Depth=3
	ds_load_b32 v2, v3 offset:16
	s_mul_i32 s86, s84, s23
	s_ashr_i32 s85, s84, 31
	s_ashr_i32 s87, s86, 31
	s_lshl_b64 s[2:3], s[84:85], 2
	s_lshl_b64 s[88:89], s[86:87], 2
	s_add_nc_u64 s[2:3], s[64:65], s[2:3]
	v_add_nc_u64_e32 v[28:29], s[88:89], v[26:27]
	s_add_nc_u64 s[86:87], s[62:63], s[88:89]
	s_mov_b32 s51, 0
	s_wait_dscnt 0x0
	v_readfirstlane_b32 s27, v2
	v_mov_b32_e32 v2, v0
	s_sub_co_i32 s84, s27, s84
	s_delay_alu instid0(SALU_CYCLE_1) | instskip(SKIP_2) | instid1(SALU_CYCLE_1)
	s_cmp_gt_i32 s84, 0
	s_cselect_b32 s27, -1, 0
	s_ashr_i32 s85, s84, 31
	s_mul_u64 s[88:89], s[84:85], s[18:19]
	s_delay_alu instid0(SALU_CYCLE_1) | instskip(NEXT) | instid1(SALU_CYCLE_1)
	s_lshl_b64 s[88:89], s[88:89], 2
	s_add_nc_u64 s[88:89], s[86:87], s[88:89]
	s_branch .LBB6_161
.LBB6_160:                              ;   in Loop: Header=BB6_161 Depth=4
	v_lshl_add_u64 v[32:33], v[2:3], 2, s[88:89]
	s_wait_xcnt 0x0
	v_add_nc_u32_e32 v2, s95, v2
	v_add_nc_u64_e32 v[28:29], s[36:37], v[28:29]
	s_wait_loadcnt 0x0
	global_store_b32 v[32:33], v30, off
	v_cmp_le_i32_e32 vcc_lo, s54, v2
	s_or_b32 s51, vcc_lo, s51
	s_wait_xcnt 0x0
	s_and_not1_b32 exec_lo, exec_lo, s51
	s_cbranch_execz .LBB6_85
.LBB6_161:                              ;   Parent Loop BB6_7 Depth=1
                                        ;     Parent Loop BB6_20 Depth=2
                                        ;       Parent Loop BB6_87 Depth=3
                                        ; =>      This Loop Header: Depth=4
                                        ;           Child Loop BB6_162 Depth 5
	global_load_b32 v30, v2, s[86:87] scale_offset
	v_mov_b64_e32 v[32:33], v[28:29]
	s_and_not1_b32 vcc_lo, exec_lo, s27
	s_mov_b64 s[90:91], s[2:3]
	s_mov_b32 s85, s84
	s_cbranch_vccnz .LBB6_160
.LBB6_162:                              ;   Parent Loop BB6_7 Depth=1
                                        ;     Parent Loop BB6_20 Depth=2
                                        ;       Parent Loop BB6_87 Depth=3
                                        ;         Parent Loop BB6_161 Depth=4
                                        ; =>        This Inner Loop Header: Depth=5
	s_delay_alu instid0(VALU_DEP_1)
	v_add_nc_u64_e32 v[34:35], s[42:43], v[32:33]
	s_add_nc_u64 s[92:93], s[90:91], s[76:77]
	s_add_co_i32 s85, s85, -1
	s_clause 0x1
	global_load_b32 v36, v3, s[90:91]
	global_load_b32 v31, v3, s[92:93]
	global_load_b32 v37, v[34:35], off
	s_wait_loadcnt 0x3
	v_mov_b32_e32 v39, v30
	s_cmp_eq_u32 s85, 0
	s_wait_xcnt 0x2
	s_add_nc_u64 s[90:91], s[90:91], 4
	s_wait_loadcnt 0x2
	v_mov_b32_e32 v38, v36
	s_wait_loadcnt 0x0
	v_pk_mul_f32 v[40:41], v[30:31], v[36:37]
	s_delay_alu instid0(VALU_DEP_1) | instskip(NEXT) | instid1(VALU_DEP_1)
	v_dual_mov_b32 v30, v37 :: v_dual_add_f32 v10, v40, v41
	v_pk_mul_f32 v[30:31], v[38:39], v[30:31]
	global_store_b32 v[32:33], v10, off
	s_wait_xcnt 0x0
	v_mov_b64_e32 v[32:33], v[34:35]
	v_sub_f32_e32 v30, v30, v31
	s_cbranch_scc0 .LBB6_162
	s_branch .LBB6_160
.LBB6_163:                              ;   in Loop: Header=BB6_87 Depth=3
	s_or_b32 exec_lo, exec_lo, s51
                                        ; implicit-def: $vgpr2
	s_and_not1_saveexec_b32 s2, s27
	s_cbranch_execnz .LBB6_155
	s_branch .LBB6_156
.LBB6_164:                              ;   in Loop: Header=BB6_166 Depth=3
	s_or_b32 exec_lo, exec_lo, s3
	s_wait_storecnt 0x0
	s_barrier_signal -1
	s_barrier_wait -1
	ds_load_b32 v36, v3
.LBB6_165:                              ;   in Loop: Header=BB6_166 Depth=3
	ds_load_2addr_b32 v[44:45], v3 offset0:5 offset1:7
	s_wait_dscnt 0x0
	v_cmp_le_i32_e32 vcc_lo, v36, v44
	v_cmp_gt_i32_e64 s3, s15, v45
	s_and_b32 s3, vcc_lo, s3
	s_delay_alu instid0(SALU_CYCLE_1)
	s_and_not1_b32 vcc_lo, exec_lo, s3
	s_cbranch_vccnz .LBB6_69
.LBB6_166:                              ;   Parent Loop BB6_7 Depth=1
                                        ;     Parent Loop BB6_20 Depth=2
                                        ; =>    This Loop Header: Depth=3
                                        ;         Child Loop BB6_172 Depth 4
                                        ;         Child Loop BB6_192 Depth 4
	;; [unrolled: 1-line block ×3, first 2 shown]
                                        ;           Child Loop BB6_240 Depth 5
	s_and_saveexec_b32 s27, s0
	s_cbranch_execz .LBB6_235
; %bb.167:                              ;   in Loop: Header=BB6_166 Depth=3
	v_cmp_lt_i32_e32 vcc_lo, v36, v44
	s_mov_b32 s3, 0
	s_cbranch_vccnz .LBB6_169
; %bb.168:                              ;   in Loop: Header=BB6_166 Depth=3
	v_ashrrev_i32_e32 v37, 31, v36
	s_mov_b32 s4, -1
	s_delay_alu instid0(VALU_DEP_1)
	v_mov_b64_e32 v[42:43], v[36:37]
	v_mov_b32_e32 v40, v36
	s_cbranch_execz .LBB6_170
	s_branch .LBB6_175
.LBB6_169:                              ;   in Loop: Header=BB6_166 Depth=3
	s_mov_b32 s4, 0
                                        ; implicit-def: $vgpr42_vgpr43
	v_mov_b32_e32 v40, v36
.LBB6_170:                              ;   in Loop: Header=BB6_166 Depth=3
	v_dual_mov_b32 v2, v36 :: v_dual_ashrrev_i32 v37, 31, v36
	s_delay_alu instid0(VALU_DEP_1) | instskip(NEXT) | instid1(VALU_DEP_1)
	v_lshlrev_b64_e32 v[32:33], 2, v[36:37]
	v_add_nc_u64_e32 v[38:39], s[60:61], v[32:33]
	v_add_nc_u64_e32 v[34:35], s[68:69], v[32:33]
	s_branch .LBB6_172
.LBB6_171:                              ;   in Loop: Header=BB6_172 Depth=4
	s_delay_alu instid0(VALU_DEP_1) | instskip(SKIP_3) | instid1(VALU_DEP_3)
	v_add_nc_u32_e32 v2, 1, v29
	v_add_nc_u64_e32 v[38:39], 4, v[32:33]
	v_add_nc_u64_e32 v[34:35], 4, v[34:35]
	s_mov_b32 s3, 0
	v_cmp_ge_i32_e64 s4, v2, v44
	s_and_not1_b32 vcc_lo, exec_lo, s4
	s_cbranch_vccz .LBB6_174
.LBB6_172:                              ;   Parent Loop BB6_7 Depth=1
                                        ;     Parent Loop BB6_20 Depth=2
                                        ;       Parent Loop BB6_166 Depth=3
                                        ; =>      This Inner Loop Header: Depth=4
	s_delay_alu instid0(VALU_DEP_2) | instskip(SKIP_4) | instid1(VALU_DEP_1)
	v_mov_b64_e32 v[32:33], v[38:39]
	global_load_b64 v[38:39], v[34:35], off
	global_load_b32 v10, v[32:33], off
	s_wait_loadcnt 0x1
	v_mul_f32_e32 v29, v38, v39
	v_and_b32_e32 v29, 0x7fffffff, v29
	s_wait_loadcnt 0x0
	s_delay_alu instid0(VALU_DEP_1) | instskip(NEXT) | instid1(VALU_DEP_1)
	v_dual_mul_f32 v10, v10, v10 :: v_dual_mul_f32 v29, s94, v29
	v_and_b32_e32 v10, 0x7fffffff, v10
	s_delay_alu instid0(VALU_DEP_1)
	v_cmp_le_f32_e32 vcc_lo, v10, v29
	v_mov_b32_e32 v29, v2
	s_cbranch_vccz .LBB6_171
; %bb.173:                              ;   in Loop: Header=BB6_166 Depth=3
	s_mov_b32 s3, -1
                                        ; implicit-def: $vgpr2
                                        ; implicit-def: $vgpr38_vgpr39
                                        ; implicit-def: $vgpr34_vgpr35
.LBB6_174:                              ;   in Loop: Header=BB6_166 Depth=3
	v_mov_b64_e32 v[34:35], v[36:37]
	v_mov_b64_e32 v[42:43], v[36:37]
	v_mov_b32_e32 v40, v44
	s_xor_b32 s4, s3, -1
	s_mov_b32 s3, -1
.LBB6_175:                              ;   in Loop: Header=BB6_166 Depth=3
	s_and_b32 vcc_lo, exec_lo, s4
	s_cbranch_vccnz .LBB6_204
; %bb.176:                              ;   in Loop: Header=BB6_166 Depth=3
	s_and_not1_b32 vcc_lo, exec_lo, s3
	s_cbranch_vccnz .LBB6_178
.LBB6_177:                              ;   in Loop: Header=BB6_166 Depth=3
	v_mov_b64_e32 v[42:43], v[34:35]
	v_mov_b32_e32 v40, v29
	ds_store_2addr_b32 v3, v29, v36 offset0:1 offset1:4
	global_store_b32 v[32:33], v3, off
.LBB6_178:                              ;   in Loop: Header=BB6_166 Depth=3
	v_lshl_add_u64 v[38:39], v[42:43], 2, s[58:59]
	v_add_nc_u32_e32 v2, 1, v36
	s_mov_b32 s3, exec_lo
	global_load_b32 v44, v[38:39], off
	s_wait_loadcnt 0x0
	ds_store_b32 v3, v44 offset:8
	s_wait_xcnt 0x0
	v_cmpx_ne_u32_e64 v40, v36
	s_xor_b32 s51, exec_lo, s3
	s_cbranch_execz .LBB6_232
; %bb.179:                              ;   in Loop: Header=BB6_166 Depth=3
	s_mov_b32 s3, exec_lo
	v_cmpx_ne_u32_e64 v40, v2
	s_xor_b32 s4, exec_lo, s3
	s_cbranch_execz .LBB6_208
; %bb.180:                              ;   in Loop: Header=BB6_166 Depth=3
	v_lshl_add_u64 v[42:43], v[42:43], 2, s[60:61]
	s_mov_b32 s92, exec_lo
	global_load_b32 v2, v[38:39], off offset:4
	global_load_b32 v10, v[42:43], off
	global_load_b32 v37, v40, s[58:59] scale_offset
	s_wait_loadcnt 0x2
	v_sub_f32_e32 v2, v2, v44
	s_wait_loadcnt 0x1
	v_add_f32_e32 v41, v10, v10
	s_delay_alu instid0(VALU_DEP_1) | instskip(NEXT) | instid1(VALU_DEP_1)
	v_div_scale_f32 v46, null, v41, v41, v2
	v_rcp_f32_e32 v47, v46
	v_nop
	s_delay_alu instid0(TRANS32_DEP_1) | instskip(NEXT) | instid1(VALU_DEP_1)
	v_fma_f32 v48, -v46, v47, 1.0
	v_fmac_f32_e32 v47, v48, v47
	v_div_scale_f32 v49, vcc_lo, v2, v41, v2
	s_delay_alu instid0(VALU_DEP_1) | instskip(NEXT) | instid1(VALU_DEP_1)
	v_mul_f32_e32 v48, v49, v47
	v_fma_f32 v50, -v46, v48, v49
	s_delay_alu instid0(VALU_DEP_1) | instskip(NEXT) | instid1(VALU_DEP_1)
	v_fmac_f32_e32 v48, v50, v47
	v_fma_f32 v46, -v46, v48, v49
	s_delay_alu instid0(VALU_DEP_1) | instskip(NEXT) | instid1(VALU_DEP_1)
	v_div_fmas_f32 v46, v46, v47, v48
	v_div_fixup_f32 v2, v46, v41, v2
	s_delay_alu instid0(VALU_DEP_1) | instskip(NEXT) | instid1(VALU_DEP_1)
	v_fma_f32 v41, v2, v2, 1.0
	v_mul_f32_e32 v46, 0x4f800000, v41
	v_cmp_gt_f32_e32 vcc_lo, 0xf800000, v41
	s_delay_alu instid0(VALU_DEP_2) | instskip(NEXT) | instid1(VALU_DEP_1)
	v_cndmask_b32_e32 v41, v41, v46, vcc_lo
	v_sqrt_f32_e32 v46, v41
	v_nop
	s_delay_alu instid0(TRANS32_DEP_1) | instskip(NEXT) | instid1(VALU_DEP_1)
	v_dual_add_nc_u32 v47, -1, v46 :: v_dual_add_nc_u32 v48, 1, v46
	v_dual_fma_f32 v49, -v47, v46, v41 :: v_dual_fma_f32 v50, -v48, v46, v41
	s_delay_alu instid0(VALU_DEP_1) | instskip(NEXT) | instid1(VALU_DEP_1)
	v_cmp_ge_f32_e64 s3, 0, v49
	v_cndmask_b32_e64 v46, v46, v47, s3
	s_delay_alu instid0(VALU_DEP_3) | instskip(NEXT) | instid1(VALU_DEP_1)
	v_cmp_lt_f32_e64 s3, 0, v50
	v_cndmask_b32_e64 v46, v46, v48, s3
	s_delay_alu instid0(VALU_DEP_1) | instskip(NEXT) | instid1(VALU_DEP_1)
	v_mul_f32_e32 v47, 0x37800000, v46
	v_cndmask_b32_e32 v46, v46, v47, vcc_lo
	v_cmp_class_f32_e64 vcc_lo, v41, 0x260
	s_delay_alu instid0(VALU_DEP_2) | instskip(SKIP_1) | instid1(VALU_DEP_2)
	v_cndmask_b32_e32 v41, v46, v41, vcc_lo
	v_cmp_nle_f32_e32 vcc_lo, 0, v2
	v_cndmask_b32_e64 v41, |v41|, -|v41|, vcc_lo
	s_delay_alu instid0(VALU_DEP_1) | instskip(NEXT) | instid1(VALU_DEP_1)
	v_add_f32_e32 v2, v2, v41
	v_div_scale_f32 v41, null, v2, v2, v10
	v_div_scale_f32 v48, vcc_lo, v10, v2, v10
	s_delay_alu instid0(VALU_DEP_2) | instskip(SKIP_1) | instid1(TRANS32_DEP_1)
	v_rcp_f32_e32 v46, v41
	v_nop
	v_fma_f32 v47, -v41, v46, 1.0
	s_delay_alu instid0(VALU_DEP_1) | instskip(NEXT) | instid1(VALU_DEP_1)
	v_fmac_f32_e32 v46, v47, v46
	v_mul_f32_e32 v47, v48, v46
	s_delay_alu instid0(VALU_DEP_1) | instskip(NEXT) | instid1(VALU_DEP_1)
	v_fma_f32 v49, -v41, v47, v48
	v_fmac_f32_e32 v47, v49, v46
	s_delay_alu instid0(VALU_DEP_1) | instskip(NEXT) | instid1(VALU_DEP_1)
	v_fma_f32 v41, -v41, v47, v48
	v_div_fmas_f32 v41, v41, v46, v47
	s_wait_loadcnt 0x0
	v_sub_f32_e32 v46, v37, v44
	s_delay_alu instid0(VALU_DEP_2) | instskip(SKIP_1) | instid1(VALU_DEP_2)
	v_div_fixup_f32 v10, v41, v2, v10
	v_dual_mov_b32 v2, 0 :: v_dual_add_nc_u32 v41, 1, v45
	v_add_f32_e32 v47, v46, v10
	ds_store_2addr_b32 v3, v3, v41 offset0:2 offset1:7
	s_wait_xcnt 0x0
	v_cmpx_gt_i32_e64 v40, v36
	s_cbranch_execz .LBB6_207
; %bb.181:                              ;   in Loop: Header=BB6_166 Depth=3
	v_ashrrev_i32_e32 v41, 31, v40
	s_mov_b32 s84, exec_lo
	s_delay_alu instid0(VALU_DEP_1)
	v_lshl_add_u64 v[44:45], v[40:41], 2, s[60:61]
	global_load_b32 v46, v[44:45], off offset:-4
	s_wait_xcnt 0x0
	v_dual_mov_b32 v44, 0 :: v_dual_mov_b32 v45, 1.0
	s_wait_loadcnt 0x0
	v_cmpx_neq_f32_e32 0, v46
	s_cbranch_execz .LBB6_189
; %bb.182:                              ;   in Loop: Header=BB6_166 Depth=3
	v_dual_mov_b32 v45, 0 :: v_dual_mov_b32 v44, 1.0
	s_mov_b32 s85, exec_lo
	v_cmpx_neq_f32_e32 0, v47
	s_cbranch_execz .LBB6_188
; %bb.183:                              ;   in Loop: Header=BB6_166 Depth=3
	s_mov_b32 s86, exec_lo
                                        ; implicit-def: $vgpr45
	v_cmpx_ngt_f32_e64 |v46|, |v47|
	s_xor_b32 s86, exec_lo, s86
	s_cbranch_execz .LBB6_185
; %bb.184:                              ;   in Loop: Header=BB6_166 Depth=3
	v_div_scale_f32 v2, null, v47, v47, -v46
	v_div_scale_f32 v45, vcc_lo, -v46, v47, -v46
	s_delay_alu instid0(VALU_DEP_2) | instskip(SKIP_1) | instid1(TRANS32_DEP_1)
	v_rcp_f32_e32 v10, v2
	v_nop
	v_fma_f32 v44, -v2, v10, 1.0
	s_delay_alu instid0(VALU_DEP_1) | instskip(NEXT) | instid1(VALU_DEP_1)
	v_fmac_f32_e32 v10, v44, v10
	v_mul_f32_e32 v44, v45, v10
	s_delay_alu instid0(VALU_DEP_1) | instskip(NEXT) | instid1(VALU_DEP_1)
	v_fma_f32 v48, -v2, v44, v45
	v_fmac_f32_e32 v44, v48, v10
	s_delay_alu instid0(VALU_DEP_1) | instskip(NEXT) | instid1(VALU_DEP_1)
	v_fma_f32 v2, -v2, v44, v45
	v_div_fmas_f32 v2, v2, v10, v44
	s_delay_alu instid0(VALU_DEP_1) | instskip(NEXT) | instid1(VALU_DEP_1)
	v_div_fixup_f32 v2, v2, v47, -v46
	v_fma_f32 v10, v2, v2, 1.0
	s_delay_alu instid0(VALU_DEP_1) | instskip(SKIP_1) | instid1(VALU_DEP_2)
	v_mul_f32_e32 v44, 0x4f800000, v10
	v_cmp_gt_f32_e32 vcc_lo, 0xf800000, v10
	v_cndmask_b32_e32 v10, v10, v44, vcc_lo
	s_delay_alu instid0(VALU_DEP_1) | instskip(SKIP_1) | instid1(TRANS32_DEP_1)
	v_sqrt_f32_e32 v44, v10
	v_nop
	v_dual_add_nc_u32 v45, -1, v44 :: v_dual_add_nc_u32 v47, 1, v44
	s_delay_alu instid0(VALU_DEP_1) | instskip(NEXT) | instid1(VALU_DEP_1)
	v_dual_fma_f32 v48, -v45, v44, v10 :: v_dual_fma_f32 v49, -v47, v44, v10
	v_cmp_ge_f32_e64 s3, 0, v48
	s_delay_alu instid0(VALU_DEP_1) | instskip(NEXT) | instid1(VALU_DEP_3)
	v_cndmask_b32_e64 v44, v44, v45, s3
	v_cmp_lt_f32_e64 s3, 0, v49
	s_delay_alu instid0(VALU_DEP_1) | instskip(NEXT) | instid1(VALU_DEP_1)
	v_cndmask_b32_e64 v44, v44, v47, s3
	v_mul_f32_e32 v45, 0x37800000, v44
	s_delay_alu instid0(VALU_DEP_1) | instskip(SKIP_1) | instid1(VALU_DEP_2)
	v_cndmask_b32_e32 v44, v44, v45, vcc_lo
	v_cmp_class_f32_e64 vcc_lo, v10, 0x260
	v_cndmask_b32_e32 v10, v44, v10, vcc_lo
	s_delay_alu instid0(VALU_DEP_1) | instskip(NEXT) | instid1(VALU_DEP_1)
	v_div_scale_f32 v44, null, v10, v10, 1.0
	v_rcp_f32_e32 v45, v44
	v_nop
	s_delay_alu instid0(TRANS32_DEP_1) | instskip(NEXT) | instid1(VALU_DEP_1)
	v_fma_f32 v47, -v44, v45, 1.0
	v_fmac_f32_e32 v45, v47, v45
	v_div_scale_f32 v47, vcc_lo, 1.0, v10, 1.0
	s_delay_alu instid0(VALU_DEP_1) | instskip(NEXT) | instid1(VALU_DEP_1)
	v_mul_f32_e32 v48, v47, v45
	v_fma_f32 v49, -v44, v48, v47
	s_delay_alu instid0(VALU_DEP_1) | instskip(NEXT) | instid1(VALU_DEP_1)
	v_fmac_f32_e32 v48, v49, v45
	v_fma_f32 v44, -v44, v48, v47
                                        ; implicit-def: $vgpr47
	s_delay_alu instid0(VALU_DEP_1) | instskip(NEXT) | instid1(VALU_DEP_1)
	v_div_fmas_f32 v44, v44, v45, v48
	v_div_fixup_f32 v45, v44, v10, 1.0
	s_delay_alu instid0(VALU_DEP_1)
	v_mul_f32_e32 v44, v2, v45
.LBB6_185:                              ;   in Loop: Header=BB6_166 Depth=3
	s_and_not1_saveexec_b32 s86, s86
	s_cbranch_execz .LBB6_187
; %bb.186:                              ;   in Loop: Header=BB6_166 Depth=3
	v_div_scale_f32 v2, null, v46, v46, -v47
	v_div_scale_f32 v45, vcc_lo, -v47, v46, -v47
	s_delay_alu instid0(VALU_DEP_2) | instskip(SKIP_1) | instid1(TRANS32_DEP_1)
	v_rcp_f32_e32 v10, v2
	v_nop
	v_fma_f32 v44, -v2, v10, 1.0
	s_delay_alu instid0(VALU_DEP_1) | instskip(NEXT) | instid1(VALU_DEP_1)
	v_fmac_f32_e32 v10, v44, v10
	v_mul_f32_e32 v44, v45, v10
	s_delay_alu instid0(VALU_DEP_1) | instskip(NEXT) | instid1(VALU_DEP_1)
	v_fma_f32 v48, -v2, v44, v45
	v_fmac_f32_e32 v44, v48, v10
	s_delay_alu instid0(VALU_DEP_1) | instskip(NEXT) | instid1(VALU_DEP_1)
	v_fma_f32 v2, -v2, v44, v45
	v_div_fmas_f32 v2, v2, v10, v44
	s_delay_alu instid0(VALU_DEP_1) | instskip(NEXT) | instid1(VALU_DEP_1)
	v_div_fixup_f32 v2, v2, v46, -v47
	v_fma_f32 v10, v2, v2, 1.0
	s_delay_alu instid0(VALU_DEP_1) | instskip(SKIP_1) | instid1(VALU_DEP_2)
	v_mul_f32_e32 v44, 0x4f800000, v10
	v_cmp_gt_f32_e32 vcc_lo, 0xf800000, v10
	v_cndmask_b32_e32 v10, v10, v44, vcc_lo
	s_delay_alu instid0(VALU_DEP_1) | instskip(SKIP_1) | instid1(TRANS32_DEP_1)
	v_sqrt_f32_e32 v44, v10
	v_nop
	v_dual_add_nc_u32 v45, -1, v44 :: v_dual_add_nc_u32 v47, 1, v44
	s_delay_alu instid0(VALU_DEP_1) | instskip(NEXT) | instid1(VALU_DEP_1)
	v_dual_fma_f32 v48, -v45, v44, v10 :: v_dual_fma_f32 v49, -v47, v44, v10
	v_cmp_ge_f32_e64 s3, 0, v48
	s_delay_alu instid0(VALU_DEP_1) | instskip(NEXT) | instid1(VALU_DEP_3)
	v_cndmask_b32_e64 v44, v44, v45, s3
	v_cmp_lt_f32_e64 s3, 0, v49
	s_delay_alu instid0(VALU_DEP_1) | instskip(NEXT) | instid1(VALU_DEP_1)
	v_cndmask_b32_e64 v44, v44, v47, s3
	v_mul_f32_e32 v45, 0x37800000, v44
	s_delay_alu instid0(VALU_DEP_1) | instskip(SKIP_1) | instid1(VALU_DEP_2)
	v_cndmask_b32_e32 v44, v44, v45, vcc_lo
	v_cmp_class_f32_e64 vcc_lo, v10, 0x260
	v_cndmask_b32_e32 v10, v44, v10, vcc_lo
	s_delay_alu instid0(VALU_DEP_1) | instskip(NEXT) | instid1(VALU_DEP_1)
	v_div_scale_f32 v44, null, v10, v10, 1.0
	v_rcp_f32_e32 v45, v44
	v_nop
	s_delay_alu instid0(TRANS32_DEP_1) | instskip(NEXT) | instid1(VALU_DEP_1)
	v_fma_f32 v47, -v44, v45, 1.0
	v_fmac_f32_e32 v45, v47, v45
	v_div_scale_f32 v47, vcc_lo, 1.0, v10, 1.0
	s_delay_alu instid0(VALU_DEP_1) | instskip(NEXT) | instid1(VALU_DEP_1)
	v_mul_f32_e32 v48, v47, v45
	v_fma_f32 v49, -v44, v48, v47
	s_delay_alu instid0(VALU_DEP_1) | instskip(NEXT) | instid1(VALU_DEP_1)
	v_fmac_f32_e32 v48, v49, v45
	v_fma_f32 v44, -v44, v48, v47
	s_delay_alu instid0(VALU_DEP_1) | instskip(NEXT) | instid1(VALU_DEP_1)
	v_div_fmas_f32 v44, v44, v45, v48
	v_div_fixup_f32 v44, v44, v10, 1.0
	s_delay_alu instid0(VALU_DEP_1)
	v_mul_f32_e32 v45, v2, v44
.LBB6_187:                              ;   in Loop: Header=BB6_166 Depth=3
	s_or_b32 exec_lo, exec_lo, s86
.LBB6_188:                              ;   in Loop: Header=BB6_166 Depth=3
	s_delay_alu instid0(SALU_CYCLE_1)
	s_or_b32 exec_lo, exec_lo, s85
.LBB6_189:                              ;   in Loop: Header=BB6_166 Depth=3
	s_delay_alu instid0(SALU_CYCLE_1)
	s_or_b32 exec_lo, exec_lo, s84
	v_lshl_add_u64 v[50:51], v[40:41], 2, s[58:59]
	v_lshl_add_u64 v[52:53], v[40:41], 2, s[64:65]
	s_mov_b32 s93, exec_lo
	global_load_b32 v2, v[50:51], off offset:-4
	v_add_nc_u64_e32 v[56:57], -4, v[52:53]
	s_delay_alu instid0(VALU_DEP_1) | instskip(SKIP_2) | instid1(VALU_DEP_1)
	v_lshl_add_u64 v[56:57], s[54:55], 2, v[56:57]
	s_wait_loadcnt 0x0
	v_sub_f32_e32 v10, v2, v37
	v_pk_mul_f32 v[48:49], v[44:45], v[10:11]
	s_delay_alu instid0(VALU_DEP_1) | instskip(NEXT) | instid1(VALU_DEP_1)
	v_dual_fma_f32 v10, v46, v49, -v48 :: v_dual_add_nc_u32 v48, -1, v40
	v_dual_mul_f32 v2, v10, -v44 :: v_dual_fma_f32 v37, v10, -v44, v37
	v_fma_f32 v47, v45, v10, -v46
	ds_store_b32 v3, v2 offset:8
	global_store_b32 v[50:51], v37, off
	s_clause 0x1
	global_store_b32 v[52:53], v45, off offset:-4
	global_store_b32 v[56:57], v44, off offset:-4
	s_wait_xcnt 0x0
	v_cmpx_gt_i32_e64 v48, v36
	s_cbranch_execz .LBB6_206
; %bb.190:                              ;   in Loop: Header=BB6_166 Depth=3
	v_ashrrev_i32_e32 v49, 31, v48
	v_xor_b32_e32 v41, 0x80000000, v44
	s_mov_b32 s97, -1
	s_mov_b32 s96, 0
	s_mov_b64 s[84:85], s[74:75]
	v_lshlrev_b64_e32 v[48:49], 2, v[48:49]
	s_mov_b64 s[86:87], s[58:59]
	s_mov_b64 s[88:89], s[72:73]
	;; [unrolled: 1-line block ×3, first 2 shown]
	s_branch .LBB6_192
.LBB6_191:                              ;   in Loop: Header=BB6_192 Depth=4
	s_wait_xcnt 0x0
	v_add_nc_u64_e32 v[50:51], s[86:87], v[48:49]
	s_add_co_i32 s97, s97, -1
	v_add_nc_u64_e32 v[56:57], s[88:89], v[48:49]
	v_xor_b32_e32 v41, 0x80000000, v52
	v_add_nc_u64_e32 v[58:59], s[90:91], v[48:49]
	s_add_nc_u64 s[90:91], s[90:91], -4
	s_add_nc_u64 s[88:89], s[88:89], -4
	global_load_b64 v[46:47], v[50:51], off offset:-4
	s_add_nc_u64 s[86:87], s[86:87], -4
	s_add_nc_u64 s[84:85], s[84:85], -4
	s_wait_loadcnt 0x0
	v_dual_mul_f32 v37, v45, v37 :: v_dual_sub_f32 v2, v47, v2
	s_delay_alu instid0(VALU_DEP_1) | instskip(NEXT) | instid1(VALU_DEP_1)
	v_sub_f32_e32 v10, v46, v2
	v_pk_mul_f32 v[44:45], v[52:53], v[10:11]
	s_delay_alu instid0(VALU_DEP_1) | instskip(SKIP_1) | instid1(VALU_DEP_2)
	v_dual_add_nc_u32 v10, s97, v40 :: v_dual_fma_f32 v44, v37, v45, -v44
	v_mov_b32_e32 v45, v53
	v_cmp_le_i32_e32 vcc_lo, v10, v36
	s_delay_alu instid0(VALU_DEP_3)
	v_dual_fma_f32 v10, v44, -v52, v2 :: v_dual_mul_f32 v2, v44, -v52
	v_fma_f32 v47, v53, v44, -v37
	s_or_b32 s96, vcc_lo, s96
	global_store_b32 v[50:51], v10, off
	global_store_b32 v[56:57], v53, off
	;; [unrolled: 1-line block ×3, first 2 shown]
	s_wait_xcnt 0x0
	s_and_not1_b32 exec_lo, exec_lo, s96
	s_cbranch_execz .LBB6_205
.LBB6_192:                              ;   Parent Loop BB6_7 Depth=1
                                        ;     Parent Loop BB6_20 Depth=2
                                        ;       Parent Loop BB6_166 Depth=3
                                        ; =>      This Inner Loop Header: Depth=4
	s_delay_alu instid0(VALU_DEP_1)
	v_add_nc_u64_e32 v[50:51], s[84:85], v[48:49]
	v_mov_b32_e32 v53, 1.0
	s_mov_b32 s98, exec_lo
	v_mov_b32_e32 v52, 0
	global_load_b32 v37, v[50:51], off
	s_wait_loadcnt 0x0
	v_mul_f32_e32 v46, v41, v37
	s_wait_xcnt 0x0
	s_delay_alu instid0(VALU_DEP_1)
	v_cmpx_neq_f32_e32 0, v46
	s_cbranch_execz .LBB6_202
; %bb.193:                              ;   in Loop: Header=BB6_192 Depth=4
	v_xor_b32_e32 v10, 0x80000000, v46
                                        ; implicit-def: $vgpr53
	s_mov_b32 s3, exec_lo
	v_cmpx_neq_f32_e32 0, v47
	s_xor_b32 s99, exec_lo, s3
	s_cbranch_execz .LBB6_199
; %bb.194:                              ;   in Loop: Header=BB6_192 Depth=4
	s_mov_b32 s100, exec_lo
                                        ; implicit-def: $vgpr53
	v_cmpx_ngt_f32_e64 |v46|, |v47|
	s_xor_b32 s100, exec_lo, s100
	s_cbranch_execz .LBB6_196
; %bb.195:                              ;   in Loop: Header=BB6_192 Depth=4
	v_div_scale_f32 v10, null, v47, v47, -v46
	v_div_scale_f32 v52, vcc_lo, -v46, v47, -v46
	s_delay_alu instid0(VALU_DEP_2) | instskip(SKIP_1) | instid1(TRANS32_DEP_1)
	v_rcp_f32_e32 v41, v10
	v_nop
	v_fma_f32 v44, -v10, v41, 1.0
	s_delay_alu instid0(VALU_DEP_1) | instskip(NEXT) | instid1(VALU_DEP_1)
	v_fmac_f32_e32 v41, v44, v41
	v_mul_f32_e32 v44, v52, v41
	s_delay_alu instid0(VALU_DEP_1) | instskip(NEXT) | instid1(VALU_DEP_1)
	v_fma_f32 v53, -v10, v44, v52
	v_fmac_f32_e32 v44, v53, v41
	s_delay_alu instid0(VALU_DEP_1) | instskip(NEXT) | instid1(VALU_DEP_1)
	v_fma_f32 v10, -v10, v44, v52
	v_div_fmas_f32 v10, v10, v41, v44
	s_delay_alu instid0(VALU_DEP_1) | instskip(NEXT) | instid1(VALU_DEP_1)
	v_div_fixup_f32 v10, v10, v47, -v46
	v_fma_f32 v41, v10, v10, 1.0
	s_delay_alu instid0(VALU_DEP_1) | instskip(SKIP_1) | instid1(VALU_DEP_2)
	v_mul_f32_e32 v44, 0x4f800000, v41
	v_cmp_gt_f32_e32 vcc_lo, 0xf800000, v41
	v_cndmask_b32_e32 v41, v41, v44, vcc_lo
	s_delay_alu instid0(VALU_DEP_1) | instskip(SKIP_1) | instid1(TRANS32_DEP_1)
	v_sqrt_f32_e32 v44, v41
	v_nop
	v_dual_add_nc_u32 v52, -1, v44 :: v_dual_add_nc_u32 v53, 1, v44
	s_delay_alu instid0(VALU_DEP_1) | instskip(NEXT) | instid1(VALU_DEP_1)
	v_dual_fma_f32 v56, -v52, v44, v41 :: v_dual_fma_f32 v57, -v53, v44, v41
	v_cmp_ge_f32_e64 s3, 0, v56
	s_delay_alu instid0(VALU_DEP_1) | instskip(NEXT) | instid1(VALU_DEP_3)
	v_cndmask_b32_e64 v44, v44, v52, s3
	v_cmp_lt_f32_e64 s3, 0, v57
	s_delay_alu instid0(VALU_DEP_1) | instskip(NEXT) | instid1(VALU_DEP_1)
	v_cndmask_b32_e64 v44, v44, v53, s3
	v_mul_f32_e32 v52, 0x37800000, v44
	s_delay_alu instid0(VALU_DEP_1) | instskip(SKIP_1) | instid1(VALU_DEP_2)
	v_cndmask_b32_e32 v44, v44, v52, vcc_lo
	v_cmp_class_f32_e64 vcc_lo, v41, 0x260
	v_cndmask_b32_e32 v41, v44, v41, vcc_lo
	s_delay_alu instid0(VALU_DEP_1) | instskip(NEXT) | instid1(VALU_DEP_1)
	v_div_scale_f32 v44, null, v41, v41, 1.0
	v_rcp_f32_e32 v52, v44
	v_nop
	s_delay_alu instid0(TRANS32_DEP_1) | instskip(NEXT) | instid1(VALU_DEP_1)
	v_fma_f32 v53, -v44, v52, 1.0
	v_fmac_f32_e32 v52, v53, v52
	v_div_scale_f32 v53, vcc_lo, 1.0, v41, 1.0
	s_delay_alu instid0(VALU_DEP_1) | instskip(NEXT) | instid1(VALU_DEP_1)
	v_mul_f32_e32 v56, v53, v52
	v_fma_f32 v57, -v44, v56, v53
	s_delay_alu instid0(VALU_DEP_1) | instskip(NEXT) | instid1(VALU_DEP_1)
	v_fmac_f32_e32 v56, v57, v52
	v_fma_f32 v44, -v44, v56, v53
	s_delay_alu instid0(VALU_DEP_1) | instskip(NEXT) | instid1(VALU_DEP_1)
	v_div_fmas_f32 v44, v44, v52, v56
	v_div_fixup_f32 v53, v44, v41, 1.0
	s_delay_alu instid0(VALU_DEP_1)
	v_mul_f32_e32 v52, v10, v53
.LBB6_196:                              ;   in Loop: Header=BB6_192 Depth=4
	s_and_not1_saveexec_b32 s100, s100
	s_cbranch_execz .LBB6_198
; %bb.197:                              ;   in Loop: Header=BB6_192 Depth=4
	v_div_scale_f32 v10, null, v46, v46, -v47
	v_div_scale_f32 v52, vcc_lo, -v47, v46, -v47
	s_delay_alu instid0(VALU_DEP_2) | instskip(SKIP_1) | instid1(TRANS32_DEP_1)
	v_rcp_f32_e32 v41, v10
	v_nop
	v_fma_f32 v44, -v10, v41, 1.0
	s_delay_alu instid0(VALU_DEP_1) | instskip(NEXT) | instid1(VALU_DEP_1)
	v_fmac_f32_e32 v41, v44, v41
	v_mul_f32_e32 v44, v52, v41
	s_delay_alu instid0(VALU_DEP_1) | instskip(NEXT) | instid1(VALU_DEP_1)
	v_fma_f32 v53, -v10, v44, v52
	v_fmac_f32_e32 v44, v53, v41
	s_delay_alu instid0(VALU_DEP_1) | instskip(NEXT) | instid1(VALU_DEP_1)
	v_fma_f32 v10, -v10, v44, v52
	v_div_fmas_f32 v10, v10, v41, v44
	s_delay_alu instid0(VALU_DEP_1) | instskip(NEXT) | instid1(VALU_DEP_1)
	v_div_fixup_f32 v10, v10, v46, -v47
	v_fma_f32 v41, v10, v10, 1.0
	s_delay_alu instid0(VALU_DEP_1) | instskip(SKIP_1) | instid1(VALU_DEP_2)
	v_mul_f32_e32 v44, 0x4f800000, v41
	v_cmp_gt_f32_e32 vcc_lo, 0xf800000, v41
	v_cndmask_b32_e32 v41, v41, v44, vcc_lo
	s_delay_alu instid0(VALU_DEP_1) | instskip(SKIP_1) | instid1(TRANS32_DEP_1)
	v_sqrt_f32_e32 v44, v41
	v_nop
	v_dual_add_nc_u32 v52, -1, v44 :: v_dual_add_nc_u32 v53, 1, v44
	s_delay_alu instid0(VALU_DEP_1) | instskip(NEXT) | instid1(VALU_DEP_1)
	v_dual_fma_f32 v56, -v52, v44, v41 :: v_dual_fma_f32 v57, -v53, v44, v41
	v_cmp_ge_f32_e64 s3, 0, v56
	s_delay_alu instid0(VALU_DEP_1) | instskip(NEXT) | instid1(VALU_DEP_3)
	v_cndmask_b32_e64 v44, v44, v52, s3
	v_cmp_lt_f32_e64 s3, 0, v57
	s_delay_alu instid0(VALU_DEP_1) | instskip(NEXT) | instid1(VALU_DEP_1)
	v_cndmask_b32_e64 v44, v44, v53, s3
	v_mul_f32_e32 v52, 0x37800000, v44
	s_delay_alu instid0(VALU_DEP_1) | instskip(SKIP_1) | instid1(VALU_DEP_2)
	v_cndmask_b32_e32 v44, v44, v52, vcc_lo
	v_cmp_class_f32_e64 vcc_lo, v41, 0x260
	v_cndmask_b32_e32 v41, v44, v41, vcc_lo
	s_delay_alu instid0(VALU_DEP_1) | instskip(NEXT) | instid1(VALU_DEP_1)
	v_div_scale_f32 v44, null, v41, v41, 1.0
	v_rcp_f32_e32 v52, v44
	v_nop
	s_delay_alu instid0(TRANS32_DEP_1) | instskip(NEXT) | instid1(VALU_DEP_1)
	v_fma_f32 v53, -v44, v52, 1.0
	v_fmac_f32_e32 v52, v53, v52
	v_div_scale_f32 v53, vcc_lo, 1.0, v41, 1.0
	s_delay_alu instid0(VALU_DEP_1) | instskip(NEXT) | instid1(VALU_DEP_1)
	v_mul_f32_e32 v56, v53, v52
	v_fma_f32 v57, -v44, v56, v53
	s_delay_alu instid0(VALU_DEP_1) | instskip(NEXT) | instid1(VALU_DEP_1)
	v_fmac_f32_e32 v56, v57, v52
	v_fma_f32 v44, -v44, v56, v53
	s_delay_alu instid0(VALU_DEP_1) | instskip(NEXT) | instid1(VALU_DEP_1)
	v_div_fmas_f32 v44, v44, v52, v56
	v_div_fixup_f32 v52, v44, v41, 1.0
	s_delay_alu instid0(VALU_DEP_1)
	v_mul_f32_e32 v53, v10, v52
.LBB6_198:                              ;   in Loop: Header=BB6_192 Depth=4
	s_or_b32 exec_lo, exec_lo, s100
	s_delay_alu instid0(VALU_DEP_1) | instskip(NEXT) | instid1(VALU_DEP_1)
	v_pk_mul_f32 v[46:47], v[46:47], v[52:53]
	v_sub_f32_e32 v10, v47, v46
.LBB6_199:                              ;   in Loop: Header=BB6_192 Depth=4
	s_and_not1_saveexec_b32 s3, s99
; %bb.200:                              ;   in Loop: Header=BB6_192 Depth=4
	v_dual_mov_b32 v52, 1.0 :: v_dual_mov_b32 v53, 0
; %bb.201:                              ;   in Loop: Header=BB6_192 Depth=4
	s_or_b32 exec_lo, exec_lo, s3
	s_delay_alu instid0(VALU_DEP_2)
	v_mov_b32_e32 v47, v10
.LBB6_202:                              ;   in Loop: Header=BB6_192 Depth=4
	s_or_b32 exec_lo, exec_lo, s98
	s_cmp_eq_u32 s97, 0
	s_cbranch_scc1 .LBB6_191
; %bb.203:                              ;   in Loop: Header=BB6_192 Depth=4
	global_store_b32 v[50:51], v47, off offset:4
	s_branch .LBB6_191
.LBB6_204:                              ;   in Loop: Header=BB6_166 Depth=3
	ds_store_2addr_b32 v3, v40, v36 offset0:1 offset1:4
	s_cbranch_execz .LBB6_177
	s_branch .LBB6_178
.LBB6_205:                              ;   in Loop: Header=BB6_166 Depth=3
	s_or_b32 exec_lo, exec_lo, s96
	ds_store_b32 v3, v2 offset:8
.LBB6_206:                              ;   in Loop: Header=BB6_166 Depth=3
	s_or_b32 exec_lo, exec_lo, s93
	global_load_b32 v44, v[38:39], off
.LBB6_207:                              ;   in Loop: Header=BB6_166 Depth=3
	s_wait_xcnt 0x0
	s_or_b32 exec_lo, exec_lo, s92
	s_wait_loadcnt 0x0
	v_sub_f32_e32 v2, v44, v2
                                        ; implicit-def: $vgpr36
                                        ; implicit-def: $vgpr44
	global_store_b32 v[38:39], v2, off
	global_store_b32 v[42:43], v47, off
                                        ; implicit-def: $vgpr42_vgpr43
                                        ; implicit-def: $vgpr38_vgpr39
.LBB6_208:                              ;   in Loop: Header=BB6_166 Depth=3
	s_wait_xcnt 0x0
	s_and_not1_saveexec_b32 s84, s4
	s_cbranch_execz .LBB6_241
; %bb.209:                              ;   in Loop: Header=BB6_166 Depth=3
	v_lshl_add_u64 v[40:41], v[42:43], 2, s[60:61]
	s_mov_b32 s4, exec_lo
                                        ; implicit-def: $vgpr2
	global_load_b32 v46, v[40:41], off
	global_load_b32 v45, v[38:39], off offset:4
	s_wait_loadcnt 0x0
	v_dual_add_f32 v10, v46, v46 :: v_dual_sub_f32 v37, v44, v45
	s_delay_alu instid0(VALU_DEP_1) | instskip(SKIP_1) | instid1(VALU_DEP_2)
	v_and_b32_e32 v47, 0x7fffffff, v10
	s_wait_xcnt 0x0
	v_cmpx_ngt_f32_e64 |v37|, |v10|
	s_xor_b32 s4, exec_lo, s4
	s_cbranch_execz .LBB6_215
; %bb.210:                              ;   in Loop: Header=BB6_166 Depth=3
	v_cmp_nlt_f32_e64 s3, |v37|, |v10|
                                        ; implicit-def: $vgpr2
	s_and_saveexec_b32 s85, s3
	s_delay_alu instid0(SALU_CYCLE_1)
	s_xor_b32 s3, exec_lo, s85
	s_cbranch_execz .LBB6_212
; %bb.211:                              ;   in Loop: Header=BB6_166 Depth=3
	v_cvt_f64_f32_e32 v[48:49], v47
                                        ; implicit-def: $vgpr47
	s_delay_alu instid0(VALU_DEP_1) | instskip(NEXT) | instid1(VALU_DEP_1)
	v_mul_f64_e32 v[48:49], 0x3ff6a09e667f3bcd, v[48:49]
	v_cvt_f32_f64_e32 v2, v[48:49]
.LBB6_212:                              ;   in Loop: Header=BB6_166 Depth=3
	s_and_not1_saveexec_b32 s85, s3
	s_cbranch_execz .LBB6_214
; %bb.213:                              ;   in Loop: Header=BB6_166 Depth=3
	v_and_b32_e32 v2, 0x7fffffff, v37
	s_delay_alu instid0(VALU_DEP_1) | instskip(SKIP_1) | instid1(VALU_DEP_2)
	v_div_scale_f32 v48, null, v47, v47, v2
	v_div_scale_f32 v2, vcc_lo, v2, v47, v2
	v_rcp_f32_e32 v49, v48
	v_nop
	s_delay_alu instid0(TRANS32_DEP_1) | instskip(NEXT) | instid1(VALU_DEP_1)
	v_fma_f32 v50, -v48, v49, 1.0
	v_fmac_f32_e32 v49, v50, v49
	s_delay_alu instid0(VALU_DEP_1) | instskip(NEXT) | instid1(VALU_DEP_1)
	v_mul_f32_e32 v47, v2, v49
	v_fma_f32 v50, -v48, v47, v2
	s_delay_alu instid0(VALU_DEP_1) | instskip(NEXT) | instid1(VALU_DEP_1)
	v_fmac_f32_e32 v47, v50, v49
	v_fma_f32 v2, -v48, v47, v2
	s_delay_alu instid0(VALU_DEP_1) | instskip(NEXT) | instid1(VALU_DEP_1)
	v_div_fmas_f32 v2, v2, v49, v47
	v_div_fixup_f32 v2, v2, |v10|, |v37|
	s_delay_alu instid0(VALU_DEP_1) | instskip(NEXT) | instid1(VALU_DEP_1)
	v_fma_f32 v2, v2, v2, 1.0
	v_mul_f32_e32 v47, 0x4f800000, v2
	v_cmp_gt_f32_e32 vcc_lo, 0xf800000, v2
	s_delay_alu instid0(VALU_DEP_2) | instskip(NEXT) | instid1(VALU_DEP_1)
	v_cndmask_b32_e32 v2, v2, v47, vcc_lo
	v_sqrt_f32_e32 v47, v2
	v_nop
	s_delay_alu instid0(TRANS32_DEP_1) | instskip(NEXT) | instid1(VALU_DEP_1)
	v_dual_add_nc_u32 v48, -1, v47 :: v_dual_add_nc_u32 v49, 1, v47
	v_dual_fma_f32 v50, -v48, v47, v2 :: v_dual_fma_f32 v51, -v49, v47, v2
	s_delay_alu instid0(VALU_DEP_1) | instskip(NEXT) | instid1(VALU_DEP_1)
	v_cmp_ge_f32_e64 s3, 0, v50
	v_cndmask_b32_e64 v47, v47, v48, s3
	s_delay_alu instid0(VALU_DEP_3) | instskip(NEXT) | instid1(VALU_DEP_1)
	v_cmp_lt_f32_e64 s3, 0, v51
	v_cndmask_b32_e64 v47, v47, v49, s3
	s_delay_alu instid0(VALU_DEP_1) | instskip(NEXT) | instid1(VALU_DEP_1)
	v_mul_f32_e32 v48, 0x37800000, v47
	v_cndmask_b32_e32 v47, v47, v48, vcc_lo
	v_cmp_class_f32_e64 vcc_lo, v2, 0x260
	s_delay_alu instid0(VALU_DEP_2) | instskip(NEXT) | instid1(VALU_DEP_1)
	v_cndmask_b32_e32 v2, v47, v2, vcc_lo
	v_mul_f32_e64 v2, |v10|, v2
.LBB6_214:                              ;   in Loop: Header=BB6_166 Depth=3
	s_or_b32 exec_lo, exec_lo, s85
                                        ; implicit-def: $vgpr47
.LBB6_215:                              ;   in Loop: Header=BB6_166 Depth=3
	s_and_not1_saveexec_b32 s4, s4
	s_cbranch_execz .LBB6_217
; %bb.216:                              ;   in Loop: Header=BB6_166 Depth=3
	v_and_b32_e32 v2, 0x7fffffff, v37
	s_delay_alu instid0(VALU_DEP_1) | instskip(SKIP_1) | instid1(VALU_DEP_2)
	v_div_scale_f32 v48, null, v2, v2, v47
	v_div_scale_f32 v2, vcc_lo, v47, v2, v47
	v_rcp_f32_e32 v49, v48
	v_nop
	s_delay_alu instid0(TRANS32_DEP_1) | instskip(NEXT) | instid1(VALU_DEP_1)
	v_fma_f32 v50, -v48, v49, 1.0
	v_fmac_f32_e32 v49, v50, v49
	s_delay_alu instid0(VALU_DEP_1) | instskip(NEXT) | instid1(VALU_DEP_1)
	v_mul_f32_e32 v47, v2, v49
	v_fma_f32 v50, -v48, v47, v2
	s_delay_alu instid0(VALU_DEP_1) | instskip(NEXT) | instid1(VALU_DEP_1)
	v_fmac_f32_e32 v47, v50, v49
	v_fma_f32 v2, -v48, v47, v2
	s_delay_alu instid0(VALU_DEP_1) | instskip(NEXT) | instid1(VALU_DEP_1)
	v_div_fmas_f32 v2, v2, v49, v47
	v_div_fixup_f32 v2, v2, |v37|, |v10|
	s_delay_alu instid0(VALU_DEP_1) | instskip(NEXT) | instid1(VALU_DEP_1)
	v_fma_f32 v2, v2, v2, 1.0
	v_mul_f32_e32 v47, 0x4f800000, v2
	v_cmp_gt_f32_e32 vcc_lo, 0xf800000, v2
	s_delay_alu instid0(VALU_DEP_2) | instskip(NEXT) | instid1(VALU_DEP_1)
	v_cndmask_b32_e32 v2, v2, v47, vcc_lo
	v_sqrt_f32_e32 v47, v2
	v_nop
	s_delay_alu instid0(TRANS32_DEP_1) | instskip(NEXT) | instid1(VALU_DEP_1)
	v_dual_add_nc_u32 v48, -1, v47 :: v_dual_add_nc_u32 v49, 1, v47
	v_dual_fma_f32 v50, -v48, v47, v2 :: v_dual_fma_f32 v51, -v49, v47, v2
	s_delay_alu instid0(VALU_DEP_1) | instskip(NEXT) | instid1(VALU_DEP_1)
	v_cmp_ge_f32_e64 s3, 0, v50
	v_cndmask_b32_e64 v47, v47, v48, s3
	s_delay_alu instid0(VALU_DEP_3) | instskip(NEXT) | instid1(VALU_DEP_1)
	v_cmp_lt_f32_e64 s3, 0, v51
	v_cndmask_b32_e64 v47, v47, v49, s3
	s_delay_alu instid0(VALU_DEP_1) | instskip(NEXT) | instid1(VALU_DEP_1)
	v_mul_f32_e32 v48, 0x37800000, v47
	v_cndmask_b32_e32 v47, v47, v48, vcc_lo
	v_cmp_class_f32_e64 vcc_lo, v2, 0x260
	s_delay_alu instid0(VALU_DEP_2) | instskip(NEXT) | instid1(VALU_DEP_1)
	v_cndmask_b32_e32 v2, v47, v2, vcc_lo
	v_mul_f32_e64 v2, |v37|, v2
.LBB6_217:                              ;   in Loop: Header=BB6_166 Depth=3
	s_or_b32 exec_lo, exec_lo, s4
	v_cmp_gt_f32_e64 vcc_lo, |v44|, |v45|
	v_add_f32_e32 v49, v44, v45
	s_mov_b32 s3, exec_lo
	v_dual_cndmask_b32 v48, v44, v45, vcc_lo :: v_dual_cndmask_b32 v50, v45, v44, vcc_lo
                                        ; implicit-def: $vgpr44_vgpr45
	s_delay_alu instid0(VALU_DEP_2)
	v_cmpx_ngt_f32_e32 0, v49
	s_xor_b32 s4, exec_lo, s3
	s_cbranch_execz .LBB6_223
; %bb.218:                              ;   in Loop: Header=BB6_166 Depth=3
	s_mov_b32 s3, exec_lo
                                        ; implicit-def: $vgpr44_vgpr45
	v_cmpx_nlt_f32_e32 0, v49
	s_xor_b32 s3, exec_lo, s3
; %bb.219:                              ;   in Loop: Header=BB6_166 Depth=3
	v_pk_mul_f32 v[44:45], v[2:3], v[8:9] op_sel_hi:[0,1]
                                        ; implicit-def: $vgpr49
                                        ; implicit-def: $vgpr50
                                        ; implicit-def: $vgpr48
                                        ; implicit-def: $vgpr46
; %bb.220:                              ;   in Loop: Header=BB6_166 Depth=3
	s_and_not1_saveexec_b32 s85, s3
	s_cbranch_execz .LBB6_222
; %bb.221:                              ;   in Loop: Header=BB6_166 Depth=3
	v_add_f32_e32 v44, v49, v2
	v_cvt_f64_f32_e32 v[50:51], v50
	v_cvt_f64_f32_e32 v[46:47], v46
	v_cvt_f64_f32_e32 v[48:49], v48
	s_delay_alu instid0(VALU_DEP_4) | instskip(NEXT) | instid1(VALU_DEP_1)
	v_mul_f32_e32 v44, 0.5, v44
	v_cvt_f64_f32_e32 v[52:53], v44
	s_delay_alu instid0(VALU_DEP_1) | instskip(SKIP_2) | instid1(VALU_DEP_3)
	v_div_scale_f64 v[56:57], null, v[52:53], v[52:53], v[50:51]
	v_div_scale_f64 v[58:59], null, v[52:53], v[52:53], v[46:47]
	v_div_scale_f64 v[68:69], vcc_lo, v[50:51], v[52:53], v[50:51]
	v_rcp_f64_e32 v[60:61], v[56:57]
	s_delay_alu instid0(VALU_DEP_2) | instskip(NEXT) | instid1(TRANS32_DEP_2)
	v_rcp_f64_e32 v[62:63], v[58:59]
	v_fma_f64 v[64:65], -v[56:57], v[60:61], 1.0
	s_delay_alu instid0(TRANS32_DEP_1) | instskip(NEXT) | instid1(VALU_DEP_2)
	v_fma_f64 v[66:67], -v[58:59], v[62:63], 1.0
	v_fmac_f64_e32 v[60:61], v[60:61], v[64:65]
	s_delay_alu instid0(VALU_DEP_2) | instskip(NEXT) | instid1(VALU_DEP_2)
	v_fmac_f64_e32 v[62:63], v[62:63], v[66:67]
	v_fma_f64 v[64:65], -v[56:57], v[60:61], 1.0
	s_delay_alu instid0(VALU_DEP_2) | instskip(NEXT) | instid1(VALU_DEP_2)
	v_fma_f64 v[66:67], -v[58:59], v[62:63], 1.0
	v_fmac_f64_e32 v[60:61], v[60:61], v[64:65]
	v_div_scale_f64 v[64:65], s3, v[46:47], v[52:53], v[46:47]
	s_delay_alu instid0(VALU_DEP_3) | instskip(NEXT) | instid1(VALU_DEP_3)
	v_fmac_f64_e32 v[62:63], v[62:63], v[66:67]
	v_mul_f64_e32 v[66:67], v[68:69], v[60:61]
	s_delay_alu instid0(VALU_DEP_2) | instskip(NEXT) | instid1(VALU_DEP_2)
	v_mul_f64_e32 v[70:71], v[64:65], v[62:63]
	v_fma_f64 v[56:57], -v[56:57], v[66:67], v[68:69]
	s_delay_alu instid0(VALU_DEP_2) | instskip(NEXT) | instid1(VALU_DEP_2)
	v_fma_f64 v[58:59], -v[58:59], v[70:71], v[64:65]
	v_div_fmas_f64 v[56:57], v[56:57], v[60:61], v[66:67]
	s_mov_b32 vcc_lo, s3
	s_delay_alu instid0(VALU_DEP_2) | instskip(NEXT) | instid1(VALU_DEP_2)
	v_div_fmas_f64 v[58:59], v[58:59], v[62:63], v[70:71]
	v_div_fixup_f64 v[50:51], v[56:57], v[52:53], v[50:51]
	s_delay_alu instid0(VALU_DEP_2) | instskip(NEXT) | instid1(VALU_DEP_1)
	v_div_fixup_f64 v[58:59], v[58:59], v[52:53], v[46:47]
	v_mul_f64_e32 v[46:47], v[58:59], v[46:47]
	s_delay_alu instid0(VALU_DEP_1) | instskip(NEXT) | instid1(VALU_DEP_1)
	v_fma_f64 v[46:47], v[50:51], v[48:49], -v[46:47]
	v_cvt_f32_f64_e32 v45, v[46:47]
.LBB6_222:                              ;   in Loop: Header=BB6_166 Depth=3
	s_or_b32 exec_lo, exec_lo, s85
                                        ; implicit-def: $vgpr49
                                        ; implicit-def: $vgpr50
                                        ; implicit-def: $vgpr48
                                        ; implicit-def: $vgpr46
.LBB6_223:                              ;   in Loop: Header=BB6_166 Depth=3
	s_or_saveexec_b32 s4, s4
	v_mov_b32_e32 v47, 1
	s_xor_b32 exec_lo, exec_lo, s4
	s_cbranch_execz .LBB6_225
; %bb.224:                              ;   in Loop: Header=BB6_166 Depth=3
	v_sub_f32_e32 v44, v49, v2
	v_cvt_f64_f32_e32 v[50:51], v50
	v_cvt_f64_f32_e32 v[46:47], v46
	;; [unrolled: 1-line block ×3, first 2 shown]
	s_delay_alu instid0(VALU_DEP_4) | instskip(NEXT) | instid1(VALU_DEP_1)
	v_mul_f32_e32 v44, 0.5, v44
	v_cvt_f64_f32_e32 v[52:53], v44
	s_delay_alu instid0(VALU_DEP_1) | instskip(SKIP_2) | instid1(VALU_DEP_3)
	v_div_scale_f64 v[56:57], null, v[52:53], v[52:53], v[50:51]
	v_div_scale_f64 v[58:59], null, v[52:53], v[52:53], v[46:47]
	v_div_scale_f64 v[68:69], vcc_lo, v[50:51], v[52:53], v[50:51]
	v_rcp_f64_e32 v[60:61], v[56:57]
	s_delay_alu instid0(VALU_DEP_2) | instskip(NEXT) | instid1(TRANS32_DEP_2)
	v_rcp_f64_e32 v[62:63], v[58:59]
	v_fma_f64 v[64:65], -v[56:57], v[60:61], 1.0
	s_delay_alu instid0(TRANS32_DEP_1) | instskip(NEXT) | instid1(VALU_DEP_2)
	v_fma_f64 v[66:67], -v[58:59], v[62:63], 1.0
	v_fmac_f64_e32 v[60:61], v[60:61], v[64:65]
	s_delay_alu instid0(VALU_DEP_2) | instskip(NEXT) | instid1(VALU_DEP_2)
	v_fmac_f64_e32 v[62:63], v[62:63], v[66:67]
	v_fma_f64 v[64:65], -v[56:57], v[60:61], 1.0
	s_delay_alu instid0(VALU_DEP_2) | instskip(NEXT) | instid1(VALU_DEP_2)
	v_fma_f64 v[66:67], -v[58:59], v[62:63], 1.0
	v_fmac_f64_e32 v[60:61], v[60:61], v[64:65]
	v_div_scale_f64 v[64:65], s3, v[46:47], v[52:53], v[46:47]
	s_delay_alu instid0(VALU_DEP_3) | instskip(NEXT) | instid1(VALU_DEP_3)
	v_fmac_f64_e32 v[62:63], v[62:63], v[66:67]
	v_mul_f64_e32 v[66:67], v[68:69], v[60:61]
	s_delay_alu instid0(VALU_DEP_2) | instskip(NEXT) | instid1(VALU_DEP_2)
	v_mul_f64_e32 v[70:71], v[64:65], v[62:63]
	v_fma_f64 v[56:57], -v[56:57], v[66:67], v[68:69]
	s_delay_alu instid0(VALU_DEP_2) | instskip(NEXT) | instid1(VALU_DEP_2)
	v_fma_f64 v[58:59], -v[58:59], v[70:71], v[64:65]
	v_div_fmas_f64 v[56:57], v[56:57], v[60:61], v[66:67]
	s_mov_b32 vcc_lo, s3
	s_delay_alu instid0(VALU_DEP_2) | instskip(NEXT) | instid1(VALU_DEP_2)
	v_div_fmas_f64 v[58:59], v[58:59], v[62:63], v[70:71]
	v_div_fixup_f64 v[50:51], v[56:57], v[52:53], v[50:51]
	s_delay_alu instid0(VALU_DEP_2) | instskip(NEXT) | instid1(VALU_DEP_1)
	v_div_fixup_f64 v[58:59], v[58:59], v[52:53], v[46:47]
	v_mul_f64_e32 v[46:47], v[58:59], v[46:47]
	s_delay_alu instid0(VALU_DEP_1) | instskip(NEXT) | instid1(VALU_DEP_1)
	v_fma_f64 v[46:47], v[50:51], v[48:49], -v[46:47]
	v_cvt_f32_f64_e32 v45, v[46:47]
	v_mov_b32_e32 v47, -1
.LBB6_225:                              ;   in Loop: Header=BB6_166 Depth=3
	s_or_b32 exec_lo, exec_lo, s4
	v_cmp_nle_f32_e64 s3, 0, v37
	s_mov_b32 s85, exec_lo
                                        ; implicit-def: $vgpr46
	v_cndmask_b32_e64 v2, v2, -v2, s3
	s_delay_alu instid0(VALU_DEP_1) | instskip(NEXT) | instid1(VALU_DEP_1)
	v_add_f32_e32 v2, v37, v2
                                        ; implicit-def: $vgpr37
	v_cmpx_ngt_f32_e64 |v2|, |v10|
	s_xor_b32 s85, exec_lo, s85
	s_cbranch_execz .LBB6_229
; %bb.226:                              ;   in Loop: Header=BB6_166 Depth=3
	v_dual_mov_b32 v37, 0 :: v_dual_mov_b32 v46, 1.0
	s_mov_b32 s86, exec_lo
	v_cmpx_neq_f32_e32 0, v10
	s_cbranch_execz .LBB6_228
; %bb.227:                              ;   in Loop: Header=BB6_166 Depth=3
	v_div_scale_f32 v37, null, v10, v10, -v2
	v_div_scale_f32 v49, vcc_lo, -v2, v10, -v2
	s_delay_alu instid0(VALU_DEP_2) | instskip(SKIP_1) | instid1(TRANS32_DEP_1)
	v_rcp_f32_e32 v46, v37
	v_nop
	v_fma_f32 v48, -v37, v46, 1.0
	s_delay_alu instid0(VALU_DEP_1) | instskip(NEXT) | instid1(VALU_DEP_1)
	v_fmac_f32_e32 v46, v48, v46
	v_mul_f32_e32 v48, v49, v46
	s_delay_alu instid0(VALU_DEP_1) | instskip(NEXT) | instid1(VALU_DEP_1)
	v_fma_f32 v50, -v37, v48, v49
	v_fmac_f32_e32 v48, v50, v46
	s_delay_alu instid0(VALU_DEP_1) | instskip(NEXT) | instid1(VALU_DEP_1)
	v_fma_f32 v37, -v37, v48, v49
	v_div_fmas_f32 v37, v37, v46, v48
	s_delay_alu instid0(VALU_DEP_1) | instskip(NEXT) | instid1(VALU_DEP_1)
	v_div_fixup_f32 v2, v37, v10, -v2
	v_fma_f32 v10, v2, v2, 1.0
	s_delay_alu instid0(VALU_DEP_1) | instskip(SKIP_1) | instid1(VALU_DEP_2)
	v_mul_f32_e32 v37, 0x4f800000, v10
	v_cmp_gt_f32_e32 vcc_lo, 0xf800000, v10
	v_cndmask_b32_e32 v10, v10, v37, vcc_lo
	s_delay_alu instid0(VALU_DEP_1) | instskip(SKIP_1) | instid1(TRANS32_DEP_1)
	v_sqrt_f32_e32 v37, v10
	v_nop
	v_dual_add_nc_u32 v46, -1, v37 :: v_dual_add_nc_u32 v48, 1, v37
	s_delay_alu instid0(VALU_DEP_1) | instskip(NEXT) | instid1(VALU_DEP_1)
	v_fma_f32 v49, -v46, v37, v10
	v_cmp_ge_f32_e64 s4, 0, v49
	s_delay_alu instid0(VALU_DEP_1) | instskip(NEXT) | instid1(VALU_DEP_1)
	v_dual_fma_f32 v50, -v48, v37, v10 :: v_dual_cndmask_b32 v37, v37, v46, s4
	v_cmp_lt_f32_e64 s4, 0, v50
	s_delay_alu instid0(VALU_DEP_1) | instskip(NEXT) | instid1(VALU_DEP_1)
	v_cndmask_b32_e64 v37, v37, v48, s4
	v_mul_f32_e32 v46, 0x37800000, v37
	s_delay_alu instid0(VALU_DEP_1) | instskip(SKIP_1) | instid1(VALU_DEP_2)
	v_cndmask_b32_e32 v37, v37, v46, vcc_lo
	v_cmp_class_f32_e64 vcc_lo, v10, 0x260
	v_cndmask_b32_e32 v10, v37, v10, vcc_lo
	s_delay_alu instid0(VALU_DEP_1) | instskip(NEXT) | instid1(VALU_DEP_1)
	v_div_scale_f32 v37, null, v10, v10, 1.0
	v_rcp_f32_e32 v46, v37
	v_nop
	s_delay_alu instid0(TRANS32_DEP_1) | instskip(NEXT) | instid1(VALU_DEP_1)
	v_fma_f32 v48, -v37, v46, 1.0
	v_fmac_f32_e32 v46, v48, v46
	v_div_scale_f32 v48, vcc_lo, 1.0, v10, 1.0
	s_delay_alu instid0(VALU_DEP_1) | instskip(NEXT) | instid1(VALU_DEP_1)
	v_mul_f32_e32 v49, v48, v46
	v_fma_f32 v50, -v37, v49, v48
	s_delay_alu instid0(VALU_DEP_1) | instskip(NEXT) | instid1(VALU_DEP_1)
	v_fmac_f32_e32 v49, v50, v46
	v_fma_f32 v37, -v37, v49, v48
	s_delay_alu instid0(VALU_DEP_1) | instskip(NEXT) | instid1(VALU_DEP_1)
	v_div_fmas_f32 v37, v37, v46, v49
	v_div_fixup_f32 v46, v37, v10, 1.0
	s_delay_alu instid0(VALU_DEP_1)
	v_mul_f32_e32 v37, v2, v46
.LBB6_228:                              ;   in Loop: Header=BB6_166 Depth=3
	s_or_b32 exec_lo, exec_lo, s86
                                        ; implicit-def: $vgpr2
                                        ; implicit-def: $vgpr10
.LBB6_229:                              ;   in Loop: Header=BB6_166 Depth=3
	s_and_not1_saveexec_b32 s85, s85
	s_cbranch_execz .LBB6_231
; %bb.230:                              ;   in Loop: Header=BB6_166 Depth=3
	v_div_scale_f32 v37, null, v2, v2, -v10
	v_div_scale_f32 v49, vcc_lo, -v10, v2, -v10
	s_delay_alu instid0(VALU_DEP_2) | instskip(SKIP_1) | instid1(TRANS32_DEP_1)
	v_rcp_f32_e32 v46, v37
	v_nop
	v_fma_f32 v48, -v37, v46, 1.0
	s_delay_alu instid0(VALU_DEP_1) | instskip(NEXT) | instid1(VALU_DEP_1)
	v_fmac_f32_e32 v46, v48, v46
	v_mul_f32_e32 v48, v49, v46
	s_delay_alu instid0(VALU_DEP_1) | instskip(NEXT) | instid1(VALU_DEP_1)
	v_fma_f32 v50, -v37, v48, v49
	v_fmac_f32_e32 v48, v50, v46
	s_delay_alu instid0(VALU_DEP_1) | instskip(NEXT) | instid1(VALU_DEP_1)
	v_fma_f32 v37, -v37, v48, v49
	v_div_fmas_f32 v37, v37, v46, v48
	s_delay_alu instid0(VALU_DEP_1) | instskip(NEXT) | instid1(VALU_DEP_1)
	v_div_fixup_f32 v2, v37, v2, -v10
	v_fma_f32 v10, v2, v2, 1.0
	s_delay_alu instid0(VALU_DEP_1) | instskip(SKIP_1) | instid1(VALU_DEP_2)
	v_mul_f32_e32 v37, 0x4f800000, v10
	v_cmp_gt_f32_e32 vcc_lo, 0xf800000, v10
	v_cndmask_b32_e32 v10, v10, v37, vcc_lo
	s_delay_alu instid0(VALU_DEP_1) | instskip(SKIP_1) | instid1(TRANS32_DEP_1)
	v_sqrt_f32_e32 v37, v10
	v_nop
	v_dual_add_nc_u32 v46, -1, v37 :: v_dual_add_nc_u32 v48, 1, v37
	s_delay_alu instid0(VALU_DEP_1) | instskip(NEXT) | instid1(VALU_DEP_1)
	v_fma_f32 v49, -v46, v37, v10
	v_cmp_ge_f32_e64 s4, 0, v49
	s_delay_alu instid0(VALU_DEP_1) | instskip(NEXT) | instid1(VALU_DEP_1)
	v_dual_fma_f32 v50, -v48, v37, v10 :: v_dual_cndmask_b32 v37, v37, v46, s4
	v_cmp_lt_f32_e64 s4, 0, v50
	s_delay_alu instid0(VALU_DEP_1) | instskip(NEXT) | instid1(VALU_DEP_1)
	v_cndmask_b32_e64 v37, v37, v48, s4
	v_mul_f32_e32 v46, 0x37800000, v37
	s_delay_alu instid0(VALU_DEP_1) | instskip(SKIP_1) | instid1(VALU_DEP_2)
	v_cndmask_b32_e32 v37, v37, v46, vcc_lo
	v_cmp_class_f32_e64 vcc_lo, v10, 0x260
	v_cndmask_b32_e32 v10, v37, v10, vcc_lo
	s_delay_alu instid0(VALU_DEP_1) | instskip(NEXT) | instid1(VALU_DEP_1)
	v_div_scale_f32 v37, null, v10, v10, 1.0
	v_rcp_f32_e32 v46, v37
	v_nop
	s_delay_alu instid0(TRANS32_DEP_1) | instskip(NEXT) | instid1(VALU_DEP_1)
	v_fma_f32 v48, -v37, v46, 1.0
	v_fmac_f32_e32 v46, v48, v46
	v_div_scale_f32 v48, vcc_lo, 1.0, v10, 1.0
	s_delay_alu instid0(VALU_DEP_1) | instskip(NEXT) | instid1(VALU_DEP_1)
	v_mul_f32_e32 v49, v48, v46
	v_fma_f32 v50, -v37, v49, v48
	s_delay_alu instid0(VALU_DEP_1) | instskip(NEXT) | instid1(VALU_DEP_1)
	v_fmac_f32_e32 v49, v50, v46
	v_fma_f32 v37, -v37, v49, v48
	s_delay_alu instid0(VALU_DEP_1) | instskip(NEXT) | instid1(VALU_DEP_1)
	v_div_fmas_f32 v37, v37, v46, v49
	v_div_fixup_f32 v37, v37, v10, 1.0
	s_delay_alu instid0(VALU_DEP_1)
	v_mul_f32_e32 v46, v2, v37
.LBB6_231:                              ;   in Loop: Header=BB6_166 Depth=3
	s_or_b32 exec_lo, exec_lo, s85
	v_cndmask_b32_e64 v2, 1, -1, s3
	v_lshl_add_u64 v[42:43], v[42:43], 2, s[64:65]
	v_add_nc_u32_e32 v36, 2, v36
	s_delay_alu instid0(VALU_DEP_3) | instskip(SKIP_1) | instid1(VALU_DEP_4)
	v_cmp_eq_u32_e32 vcc_lo, v47, v2
	v_dual_cndmask_b32 v2, v37, v46, vcc_lo :: v_dual_cndmask_b32 v10, v46, -v37, vcc_lo
	v_lshl_add_u64 v[46:47], s[54:55], 2, v[42:43]
	s_clause 0x1
	global_store_b32 v[42:43], v10, off
	global_store_b32 v[46:47], v2, off offset:-4
	global_store_b64 v[38:39], v[44:45], off
	global_store_b32 v[40:41], v3, off
	ds_store_b32 v3, v36
	s_wait_xcnt 0x0
	s_or_b32 exec_lo, exec_lo, s84
                                        ; implicit-def: $vgpr2
.LBB6_232:                              ;   in Loop: Header=BB6_166 Depth=3
	s_and_not1_saveexec_b32 s3, s51
.LBB6_233:                              ;   in Loop: Header=BB6_166 Depth=3
	ds_store_b32 v3, v2
.LBB6_234:                              ;   in Loop: Header=BB6_166 Depth=3
	s_or_b32 exec_lo, exec_lo, s3
.LBB6_235:                              ;   in Loop: Header=BB6_166 Depth=3
	s_delay_alu instid0(SALU_CYCLE_1)
	s_or_b32 exec_lo, exec_lo, s27
	s_wait_storecnt_dscnt 0x0
	s_barrier_signal -1
	s_barrier_wait -1
	ds_load_b64 v[36:37], v3
	s_wait_dscnt 0x0
	v_readfirstlane_b32 s4, v37
	s_delay_alu instid0(VALU_DEP_1)
	v_cmp_eq_u32_e32 vcc_lo, s4, v36
	v_mov_b32_e32 v36, s4
	s_cbranch_vccnz .LBB6_165
; %bb.236:                              ;   in Loop: Header=BB6_166 Depth=3
	s_and_saveexec_b32 s3, s1
	s_cbranch_execz .LBB6_164
; %bb.237:                              ;   in Loop: Header=BB6_166 Depth=3
	ds_load_b32 v36, v3 offset:16
	v_mov_b32_e32 v2, v0
	s_mov_b32 s51, 0
	s_wait_dscnt 0x0
	v_mul_lo_u32 v38, v36, s23
	v_readfirstlane_b32 s27, v36
	v_ashrrev_i32_e32 v37, 31, v36
	s_sub_co_i32 s84, s4, s27
	s_delay_alu instid0(SALU_CYCLE_1) | instskip(NEXT) | instid1(SALU_CYCLE_1)
	s_ashr_i32 s85, s84, 31
	s_mul_u64 s[86:87], s[84:85], s[18:19]
	v_ashrrev_i32_e32 v39, 31, v38
	v_lshlrev_b64_e32 v[36:37], 2, v[36:37]
	s_lshl_b64 s[86:87], s[86:87], 2
	s_cmp_gt_i32 s84, 0
	s_cselect_b32 s27, -1, 0
	v_lshlrev_b64_e32 v[38:39], 2, v[38:39]
	s_add_co_i32 s4, s84, -1
	s_delay_alu instid0(SALU_CYCLE_1) | instskip(SKIP_2) | instid1(VALU_DEP_2)
	s_lshl_b64 s[88:89], s[4:5], 2
	s_mul_u64 s[90:91], s[42:43], s[4:5]
	v_add_nc_u64_e32 v[40:41], s[88:89], v[36:37]
	v_add_nc_u64_e32 v[36:37], s[62:63], v[38:39]
	;; [unrolled: 1-line block ×3, first 2 shown]
	s_delay_alu instid0(VALU_DEP_3) | instskip(NEXT) | instid1(VALU_DEP_3)
	v_add_nc_u64_e32 v[38:39], s[78:79], v[40:41]
	v_add_nc_u64_e32 v[40:41], s[86:87], v[36:37]
	s_delay_alu instid0(VALU_DEP_3)
	v_add_nc_u64_e32 v[42:43], v[26:27], v[42:43]
	s_branch .LBB6_239
.LBB6_238:                              ;   in Loop: Header=BB6_239 Depth=4
	s_wait_xcnt 0x0
	v_add_nc_u32_e32 v2, s95, v2
	v_add_nc_u64_e32 v[42:43], s[36:37], v[42:43]
	s_wait_loadcnt 0x0
	global_store_b32 v[44:45], v46, off
	v_cmp_le_i32_e32 vcc_lo, s54, v2
	s_or_b32 s51, vcc_lo, s51
	s_wait_xcnt 0x0
	s_and_not1_b32 exec_lo, exec_lo, s51
	s_cbranch_execz .LBB6_164
.LBB6_239:                              ;   Parent Loop BB6_7 Depth=1
                                        ;     Parent Loop BB6_20 Depth=2
                                        ;       Parent Loop BB6_166 Depth=3
                                        ; =>      This Loop Header: Depth=4
                                        ;           Child Loop BB6_240 Depth 5
	s_delay_alu instid0(VALU_DEP_2) | instskip(NEXT) | instid1(VALU_DEP_3)
	v_readfirstlane_b32 s86, v40
	v_readfirstlane_b32 s87, v41
	s_delay_alu instid0(VALU_DEP_3)
	v_mov_b64_e32 v[48:49], v[42:43]
	v_mov_b64_e32 v[50:51], v[38:39]
	v_lshl_add_u64 v[44:45], v[2:3], 2, v[36:37]
	s_and_not1_b32 vcc_lo, exec_lo, s27
	global_load_b32 v46, v2, s[86:87] scale_offset
	s_mov_b32 s4, s84
	s_cbranch_vccnz .LBB6_238
.LBB6_240:                              ;   Parent Loop BB6_7 Depth=1
                                        ;     Parent Loop BB6_20 Depth=2
                                        ;       Parent Loop BB6_166 Depth=3
                                        ;         Parent Loop BB6_239 Depth=4
                                        ; =>        This Inner Loop Header: Depth=5
	s_wait_xcnt 0x0
	v_add_nc_u64_e32 v[52:53], s[76:77], v[50:51]
	s_wait_xcnt 0x0
	s_mul_u64 s[86:87], s[4:5], s[18:19]
	s_add_co_i32 s85, s4, -1
	global_load_b32 v56, v[50:51], off
	global_load_b32 v57, v[48:49], off
	;; [unrolled: 1-line block ×3, first 2 shown]
	s_wait_loadcnt 0x3
	s_wait_xcnt 0x0
	v_mov_b32_e32 v52, v46
	v_add_nc_u64_e32 v[50:51], -4, v[50:51]
	v_add_nc_u64_e32 v[48:49], s[46:47], v[48:49]
	s_cmp_eq_u32 s85, 0
	s_mov_b32 s4, s85
	s_wait_loadcnt 0x2
	v_mov_b32_e32 v53, v56
	s_wait_loadcnt 0x0
	v_pk_mul_f32 v[58:59], v[46:47], v[56:57]
	s_delay_alu instid0(VALU_DEP_1) | instskip(NEXT) | instid1(VALU_DEP_1)
	v_dual_mov_b32 v56, v47 :: v_dual_sub_f32 v10, v58, v59
	v_pk_mul_f32 v[46:47], v[52:53], v[56:57]
	v_lshl_add_u64 v[52:53], s[86:87], 2, v[44:45]
	s_delay_alu instid0(VALU_DEP_2)
	v_add_f32_e32 v46, v46, v47
	global_store_b32 v[52:53], v10, off
	s_cbranch_scc0 .LBB6_240
	s_branch .LBB6_238
.LBB6_241:                              ;   in Loop: Header=BB6_166 Depth=3
	s_or_b32 exec_lo, exec_lo, s84
                                        ; implicit-def: $vgpr2
	s_and_not1_saveexec_b32 s3, s51
	s_cbranch_execnz .LBB6_233
	s_branch .LBB6_234
.LBB6_242:                              ;   in Loop: Header=BB6_7 Depth=1
	s_mov_b32 s1, exec_lo
	v_cmpx_gt_i32_e64 s50, v0
	s_cbranch_execz .LBB6_5
; %bb.243:                              ;   in Loop: Header=BB6_7 Depth=1
	v_lshl_add_u64 v[26:27], s[52:53], 2, v[6:7]
	v_mov_b32_e32 v2, v0
	s_mov_b32 s2, 0
	s_branch .LBB6_245
.LBB6_244:                              ;   in Loop: Header=BB6_245 Depth=2
	s_wait_xcnt 0x0
	s_or_b32 exec_lo, exec_lo, s3
	v_add_nc_u32_e32 v2, s95, v2
	v_add_nc_u64_e32 v[26:27], s[36:37], v[26:27]
	s_delay_alu instid0(VALU_DEP_2) | instskip(SKIP_1) | instid1(SALU_CYCLE_1)
	v_cmp_le_i32_e32 vcc_lo, s50, v2
	s_or_b32 s2, vcc_lo, s2
	s_and_not1_b32 exec_lo, exec_lo, s2
	s_cbranch_execz .LBB6_5
.LBB6_245:                              ;   Parent Loop BB6_7 Depth=1
                                        ; =>  This Inner Loop Header: Depth=2
	global_load_b32 v10, v[26:27], off
	s_mov_b32 s3, exec_lo
	s_wait_loadcnt 0x0
	s_wait_xcnt 0x0
	v_cmpx_neq_f32_e32 0, v10
	s_cbranch_execz .LBB6_244
; %bb.246:                              ;   in Loop: Header=BB6_245 Depth=2
	s_mov_b32 s4, exec_lo
	s_delay_alu instid0(SALU_CYCLE_1) | instskip(NEXT) | instid1(VALU_DEP_1)
	v_mbcnt_lo_u32_b32 v10, s4, 0
	v_cmp_eq_u32_e32 vcc_lo, 0, v10
	s_and_b32 s15, exec_lo, vcc_lo
	s_delay_alu instid0(SALU_CYCLE_1)
	s_mov_b32 exec_lo, s15
	s_cbranch_execz .LBB6_244
; %bb.247:                              ;   in Loop: Header=BB6_245 Depth=2
	s_bcnt1_i32_b32 s4, s4
	s_delay_alu instid0(SALU_CYCLE_1)
	v_mov_b32_e32 v10, s4
	global_atomic_add_u32 v3, v10, s[6:7] scope:SCOPE_DEV
	s_branch .LBB6_244
.LBB6_248:
	s_endpgm
.LBB6_249:
	s_mov_b32 s3, -1
                                        ; implicit-def: $sgpr24_sgpr25
	s_branch .LBB6_2
	.section	.rodata,"a",@progbits
	.p2align	6, 0x0
	.amdhsa_kernel _ZN9rocsolver6v33100L19stedcx_solve_kernelIfEEviPT_lS3_lS3_iilPiS3_S4_S2_S2_S2_
		.amdhsa_group_segment_fixed_size 36
		.amdhsa_private_segment_fixed_size 0
		.amdhsa_kernarg_size 360
		.amdhsa_user_sgpr_count 2
		.amdhsa_user_sgpr_dispatch_ptr 0
		.amdhsa_user_sgpr_queue_ptr 0
		.amdhsa_user_sgpr_kernarg_segment_ptr 1
		.amdhsa_user_sgpr_dispatch_id 0
		.amdhsa_user_sgpr_kernarg_preload_length 0
		.amdhsa_user_sgpr_kernarg_preload_offset 0
		.amdhsa_user_sgpr_private_segment_size 0
		.amdhsa_wavefront_size32 1
		.amdhsa_uses_dynamic_stack 0
		.amdhsa_enable_private_segment 0
		.amdhsa_system_sgpr_workgroup_id_x 1
		.amdhsa_system_sgpr_workgroup_id_y 1
		.amdhsa_system_sgpr_workgroup_id_z 1
		.amdhsa_system_sgpr_workgroup_info 0
		.amdhsa_system_vgpr_workitem_id 0
		.amdhsa_next_free_vgpr 72
		.amdhsa_next_free_sgpr 101
		.amdhsa_named_barrier_count 0
		.amdhsa_reserve_vcc 1
		.amdhsa_float_round_mode_32 0
		.amdhsa_float_round_mode_16_64 0
		.amdhsa_float_denorm_mode_32 3
		.amdhsa_float_denorm_mode_16_64 3
		.amdhsa_fp16_overflow 0
		.amdhsa_memory_ordered 1
		.amdhsa_forward_progress 1
		.amdhsa_inst_pref_size 120
		.amdhsa_round_robin_scheduling 0
		.amdhsa_exception_fp_ieee_invalid_op 0
		.amdhsa_exception_fp_denorm_src 0
		.amdhsa_exception_fp_ieee_div_zero 0
		.amdhsa_exception_fp_ieee_overflow 0
		.amdhsa_exception_fp_ieee_underflow 0
		.amdhsa_exception_fp_ieee_inexact 0
		.amdhsa_exception_int_div_zero 0
	.end_amdhsa_kernel
	.section	.text._ZN9rocsolver6v33100L19stedcx_solve_kernelIfEEviPT_lS3_lS3_iilPiS3_S4_S2_S2_S2_,"axG",@progbits,_ZN9rocsolver6v33100L19stedcx_solve_kernelIfEEviPT_lS3_lS3_iilPiS3_S4_S2_S2_S2_,comdat
.Lfunc_end6:
	.size	_ZN9rocsolver6v33100L19stedcx_solve_kernelIfEEviPT_lS3_lS3_iilPiS3_S4_S2_S2_S2_, .Lfunc_end6-_ZN9rocsolver6v33100L19stedcx_solve_kernelIfEEviPT_lS3_lS3_iilPiS3_S4_S2_S2_S2_
                                        ; -- End function
	.set _ZN9rocsolver6v33100L19stedcx_solve_kernelIfEEviPT_lS3_lS3_iilPiS3_S4_S2_S2_S2_.num_vgpr, 72
	.set _ZN9rocsolver6v33100L19stedcx_solve_kernelIfEEviPT_lS3_lS3_iilPiS3_S4_S2_S2_S2_.num_agpr, 0
	.set _ZN9rocsolver6v33100L19stedcx_solve_kernelIfEEviPT_lS3_lS3_iilPiS3_S4_S2_S2_S2_.numbered_sgpr, 101
	.set _ZN9rocsolver6v33100L19stedcx_solve_kernelIfEEviPT_lS3_lS3_iilPiS3_S4_S2_S2_S2_.num_named_barrier, 0
	.set _ZN9rocsolver6v33100L19stedcx_solve_kernelIfEEviPT_lS3_lS3_iilPiS3_S4_S2_S2_S2_.private_seg_size, 0
	.set _ZN9rocsolver6v33100L19stedcx_solve_kernelIfEEviPT_lS3_lS3_iilPiS3_S4_S2_S2_S2_.uses_vcc, 1
	.set _ZN9rocsolver6v33100L19stedcx_solve_kernelIfEEviPT_lS3_lS3_iilPiS3_S4_S2_S2_S2_.uses_flat_scratch, 0
	.set _ZN9rocsolver6v33100L19stedcx_solve_kernelIfEEviPT_lS3_lS3_iilPiS3_S4_S2_S2_S2_.has_dyn_sized_stack, 0
	.set _ZN9rocsolver6v33100L19stedcx_solve_kernelIfEEviPT_lS3_lS3_iilPiS3_S4_S2_S2_S2_.has_recursion, 0
	.set _ZN9rocsolver6v33100L19stedcx_solve_kernelIfEEviPT_lS3_lS3_iilPiS3_S4_S2_S2_S2_.has_indirect_call, 0
	.section	.AMDGPU.csdata,"",@progbits
; Kernel info:
; codeLenInByte = 15360
; TotalNumSgprs: 103
; NumVgprs: 72
; ScratchSize: 0
; MemoryBound: 0
; FloatMode: 240
; IeeeMode: 1
; LDSByteSize: 36 bytes/workgroup (compile time only)
; SGPRBlocks: 0
; VGPRBlocks: 4
; NumSGPRsForWavesPerEU: 103
; NumVGPRsForWavesPerEU: 72
; NamedBarCnt: 0
; Occupancy: 12
; WaveLimiterHint : 1
; COMPUTE_PGM_RSRC2:SCRATCH_EN: 0
; COMPUTE_PGM_RSRC2:USER_SGPR: 2
; COMPUTE_PGM_RSRC2:TRAP_HANDLER: 0
; COMPUTE_PGM_RSRC2:TGID_X_EN: 1
; COMPUTE_PGM_RSRC2:TGID_Y_EN: 1
; COMPUTE_PGM_RSRC2:TGID_Z_EN: 1
; COMPUTE_PGM_RSRC2:TIDIG_COMP_CNT: 0
	.section	.text._ZN9rocsolver6v33100L26stedcx_mergePrepare_kernelIfEEviiPT_lS3_lS3_iilS3_S3_PiS2_,"axG",@progbits,_ZN9rocsolver6v33100L26stedcx_mergePrepare_kernelIfEEviiPT_lS3_lS3_iilS3_S3_PiS2_,comdat
	.globl	_ZN9rocsolver6v33100L26stedcx_mergePrepare_kernelIfEEviiPT_lS3_lS3_iilS3_S3_PiS2_ ; -- Begin function _ZN9rocsolver6v33100L26stedcx_mergePrepare_kernelIfEEviiPT_lS3_lS3_iilS3_S3_PiS2_
	.p2align	8
	.type	_ZN9rocsolver6v33100L26stedcx_mergePrepare_kernelIfEEviiPT_lS3_lS3_iilS3_S3_PiS2_,@function
_ZN9rocsolver6v33100L26stedcx_mergePrepare_kernelIfEEviiPT_lS3_lS3_iilS3_S3_PiS2_: ; @_ZN9rocsolver6v33100L26stedcx_mergePrepare_kernelIfEEviiPT_lS3_lS3_iilS3_S3_PiS2_
; %bb.0:
	s_clause 0x1
	s_load_b128 s[20:23], s[0:1], 0x28
	s_load_b256 s[4:11], s[0:1], 0x38
	s_bfe_u32 s2, ttmp6, 0x40014
	s_lshr_b32 s3, ttmp7, 16
	s_add_co_i32 s2, s2, 1
	s_bfe_u32 s12, ttmp6, 0x40008
	s_mul_i32 s2, s3, s2
	s_getreg_b32 s27, hwreg(HW_REG_IB_STS2, 6, 4)
	s_add_co_i32 s12, s12, s2
	s_cmp_eq_u32 s27, 0
	s_mov_b32 s39, 0
	s_cselect_b32 s38, s3, s12
	s_wait_kmcnt 0x0
	s_cmp_lg_u64 s[20:21], 0
	s_cbranch_scc0 .LBB7_96
; %bb.1:
	s_mul_u64 s[2:3], s[4:5], s[38:39]
	s_ashr_i32 s5, s22, 31
	s_lshl_b64 s[2:3], s[2:3], 2
	s_mov_b32 s4, s22
	s_add_nc_u64 s[2:3], s[20:21], s[2:3]
	s_lshl_b64 s[4:5], s[4:5], 2
	s_delay_alu instid0(SALU_CYCLE_1)
	s_add_nc_u64 s[20:21], s[2:3], s[4:5]
	s_and_not1_b32 vcc_lo, exec_lo, s39
	s_cbranch_vccnz .LBB7_3
.LBB7_2:
	s_mov_b32 s39, 0
                                        ; implicit-def: $sgpr20_sgpr21
.LBB7_3:
	s_load_b64 s[24:25], s[0:1], 0x0
	s_bfe_u32 s2, ttmp6, 0x40010
	s_and_b32 s3, ttmp7, 0xffff
	s_add_co_i32 s2, s2, 1
	s_bfe_u32 s4, ttmp6, 0x40004
	s_mul_i32 s2, s3, s2
	s_mov_b32 s35, 0
	s_add_co_i32 s4, s4, s2
	s_cmp_eq_u32 s27, 0
	s_cselect_b32 s26, s3, s4
	s_wait_kmcnt 0x0
	s_mul_i32 s2, s25, 5
	s_ashr_i32 s37, s25, 31
	s_add_co_i32 s2, s2, 2
	s_mov_b32 s36, s25
	s_mul_i32 s2, s2, s38
	s_lshl_b64 s[4:5], s[36:37], 2
	s_ashr_i32 s3, s2, 31
	s_delay_alu instid0(SALU_CYCLE_1) | instskip(NEXT) | instid1(SALU_CYCLE_1)
	s_lshl_b64 s[2:3], s[2:3], 2
	s_add_nc_u64 s[28:29], s[10:11], s[2:3]
	s_delay_alu instid0(SALU_CYCLE_1)
	s_add_nc_u64 s[30:31], s[28:29], s[4:5]
	s_load_b32 s22, s[30:31], 0x4
	s_wait_kmcnt 0x0
	s_cmp_ge_i32 s26, s22
	s_cbranch_scc1 .LBB7_95
; %bb.4:
	s_clause 0x1
	s_load_b256 s[12:19], s[0:1], 0x8
	s_load_b32 s50, s[0:1], 0x6c
	s_lshl_b32 s33, s38, 1
	s_mul_i32 s34, s25, s25
	s_load_b32 s56, s[0:1], 0x58
	s_wait_xcnt 0x0
	s_bfe_u32 s1, ttmp6, 0x4000c
	s_mul_i32 s0, s33, s25
	s_mul_i32 s44, s33, s34
	s_add_co_i32 s33, s1, 1
	s_and_b32 s46, ttmp6, 15
	s_ashr_i32 s1, s0, 31
	s_mul_i32 s33, ttmp9, s33
	s_lshl_b64 s[40:41], s[34:35], 2
	s_ashr_i32 s45, s44, 31
	s_lshl_b64 s[42:43], s[0:1], 2
	s_add_co_i32 s34, s46, s33
	s_lshl_b64 s[48:49], s[44:45], 2
	v_lshlrev_b32_e32 v4, 2, v0
	s_mul_u64 s[36:37], s[36:37], 12
	s_add_nc_u64 s[6:7], s[6:7], s[42:43]
	s_wait_kmcnt 0x0
	s_mul_u64 s[0:1], s[14:15], s[38:39]
	s_and_b32 s33, s50, 0xffff
	s_mul_u64 s[14:15], s[18:19], s[38:39]
	s_lshl_b64 s[44:45], s[0:1], 2
	s_lshl_b32 s0, s33, 2
	s_lshl_b64 s[46:47], s[14:15], 2
	s_add_co_i32 s58, s0, 0
	s_cmp_eq_u32 s27, 0
	s_add_nc_u64 s[14:15], s[30:31], s[4:5]
	s_cselect_b32 s59, ttmp9, s34
	s_bfe_u32 s63, s50, 0xf0001
	s_lshl_b32 s61, 1, s24
	s_cvt_f32_u32 s0, s63
	s_lshl_b32 s62, 2, s24
	s_not_b32 s60, s24
	s_cmp_gt_i32 s61, 1
	s_mul_i32 s38, s62, s59
	v_rcp_iflag_f32_e32 v1, s0
	s_cselect_b32 s64, -1, 0
	s_ashr_i32 s39, s38, 31
	s_cmp_gt_i32 s62, 1
	s_bfm_b32 s0, s24, 0
	s_cselect_b32 s65, -1, 0
	s_cmp_gt_i32 s25, 0
	v_nop
	v_readfirstlane_b32 s1, v1
	s_cselect_b32 s66, -1, 0
	s_cmp_eq_u32 s24, 1
	v_mov_b32_e32 v1, 0
	s_cselect_b32 s67, -1, 0
	s_cmp_lg_u32 s24, 1
	s_add_nc_u64 s[50:51], s[4:5], s[2:3]
	s_cselect_b32 s68, -1, 0
	s_and_b32 s69, s0, -2
	s_or_b32 s70, s0, 1
	s_cmp_lg_u32 s0, s69
	s_mul_f32 s0, s1, 0x4f7ffffe
	s_cselect_b32 s71, -1, 0
	s_cmp_lg_u32 s24, 0
	s_add_nc_u64 s[52:53], s[10:11], s[50:51]
	s_cvt_u32_f32 s0, s0
	s_cselect_b32 s72, -1, 0
	s_sub_co_i32 s1, 0, s63
	s_add_nc_u64 s[54:55], s[36:37], s[2:3]
	s_mul_i32 s1, s1, s0
	s_add_nc_u64 s[2:3], s[8:9], s[48:49]
	s_mul_hi_u32 s1, s0, s1
	s_add_nc_u64 s[18:19], s[14:15], s[4:5]
	s_add_co_i32 s0, s0, s1
	s_add_nc_u64 s[8:9], s[2:3], s[40:41]
	v_mul_hi_u32 v2, v0, s0
	s_lshl_b32 s3, s33, 1
	s_add_nc_u64 s[36:37], s[18:19], s[4:5]
	v_cmp_eq_u32_e64 s0, 0, v0
	v_cmp_gt_u32_e64 s1, s63, v0
	v_cmp_le_u32_e64 s2, s63, v0
	s_and_b32 s34, s3, 0x1fffc
	s_mul_f32 s73, s56, 0x41000000
	s_add_nc_u64 s[42:43], s[10:11], s[54:55]
	s_add_nc_u64 s[12:13], s[12:13], s[44:45]
	;; [unrolled: 1-line block ×3, first 2 shown]
	v_mul_lo_u32 v3, v2, s63
	s_mul_i32 s74, s23, s63
	v_add_nc_u32_e32 v5, 1, v2
	s_add_co_i32 s75, s62, -2
	s_mov_b64 s[40:41], 0x3ff6a09e667f3bcd
	s_add_nc_u64 s[42:43], s[42:43], 8
	s_delay_alu instid0(VALU_DEP_2) | instskip(NEXT) | instid1(VALU_DEP_1)
	v_dual_add_nc_u32 v19, s58, v4 :: v_dual_sub_nc_u32 v3, v0, v3
	v_subrev_nc_u32_e32 v6, s63, v3
	v_cmp_le_u32_e32 vcc_lo, s63, v3
	v_dual_add_nc_u32 v18, 0, v4 :: v_dual_cndmask_b32 v2, v2, v5, vcc_lo
	s_delay_alu instid0(VALU_DEP_3) | instskip(NEXT) | instid1(VALU_DEP_2)
	v_cndmask_b32_e32 v3, v3, v6, vcc_lo
	v_add_nc_u32_e32 v5, 1, v2
	s_delay_alu instid0(VALU_DEP_2) | instskip(NEXT) | instid1(VALU_DEP_2)
	v_cmp_le_u32_e32 vcc_lo, s63, v3
	v_cndmask_b32_e32 v3, v2, v5, vcc_lo
	s_delay_alu instid0(VALU_DEP_1) | instskip(NEXT) | instid1(VALU_DEP_1)
	v_mul_lo_u32 v6, v3, s63
	v_sub_nc_u32_e32 v20, v0, v6
	v_lshl_add_u32 v2, v3, s24, s38
	s_lshl_b64 s[38:39], s[38:39], 2
	s_add_co_i32 s24, s62, -1
	s_add_nc_u64 s[4:5], s[50:51], s[38:39]
	s_delay_alu instid0(VALU_DEP_1) | instskip(SKIP_1) | instid1(SALU_CYCLE_1)
	v_dual_ashrrev_i32 v3, 31, v2 :: v_dual_add_nc_u32 v7, 1, v2
	s_add_nc_u64 s[4:5], s[10:11], s[4:5]
	s_add_nc_u64 s[10:11], s[4:5], 8
	s_delay_alu instid0(VALU_DEP_1) | instskip(NEXT) | instid1(VALU_DEP_2)
	v_lshl_add_u64 v[4:5], v[2:3], 2, s[52:53]
	v_add3_u32 v8, s61, -2, v7
	v_lshlrev_b64_e32 v[2:3], 2, v[2:3]
	s_delay_alu instid0(VALU_DEP_3) | instskip(NEXT) | instid1(VALU_DEP_3)
	v_add_nc_u64_e32 v[4:5], 8, v[4:5]
	v_cmp_ge_i32_e64 s3, v8, v7
	s_branch .LBB7_6
.LBB7_5:                                ;   in Loop: Header=BB7_6 Depth=1
	s_add_co_i32 s26, s26, 8
	s_delay_alu instid0(SALU_CYCLE_1)
	s_cmp_ge_i32 s26, s22
	s_cbranch_scc1 .LBB7_95
.LBB7_6:                                ; =>This Loop Header: Depth=1
                                        ;     Child Loop BB7_16 Depth 2
                                        ;     Child Loop BB7_21 Depth 2
	;; [unrolled: 1-line block ×9, first 2 shown]
                                        ;       Child Loop BB7_55 Depth 3
                                        ;         Child Loop BB7_86 Depth 4
                                        ;     Child Loop BB7_91 Depth 2
	s_ashr_i32 s27, s26, 31
	s_delay_alu instid0(SALU_CYCLE_1)
	s_lshl_b64 s[4:5], s[26:27], 2
	s_barrier_signal -1
	s_add_nc_u64 s[4:5], s[28:29], s[4:5]
	s_barrier_wait -1
	global_load_b64 v[6:7], v1, s[4:5]
	s_wait_xcnt 0x0
	s_mov_b32 s5, 0
	s_wait_loadcnt 0x0
	v_readfirstlane_b32 s48, v6
	v_readfirstlane_b32 s4, v7
	s_sub_co_i32 s4, s4, s48
	s_delay_alu instid0(SALU_CYCLE_1)
	s_cmp_lt_i32 s4, 3
	s_cbranch_scc1 .LBB7_11
; %bb.7:                                ;   in Loop: Header=BB7_6 Depth=1
	s_cmp_lt_u32 s4, 5
	s_mov_b32 s5, 1
	s_cbranch_scc1 .LBB7_11
; %bb.8:                                ;   in Loop: Header=BB7_6 Depth=1
	s_cmp_lt_u32 s4, 33
	s_mov_b32 s5, 2
	;; [unrolled: 4-line block ×3, first 2 shown]
	s_cbranch_scc1 .LBB7_11
; %bb.10:                               ;   in Loop: Header=BB7_6 Depth=1
	s_cmp_lt_u32 s4, 0x128
	s_cselect_b32 s5, 5, 7
	s_cmp_lt_u32 s4, 0x79b
	s_cselect_b32 s5, s5, 8
.LBB7_11:                               ;   in Loop: Header=BB7_6 Depth=1
	s_delay_alu instid0(SALU_CYCLE_1) | instskip(NEXT) | instid1(SALU_CYCLE_1)
	s_add_co_i32 s4, s5, s60
	s_lshl_b32 s5, 1, s4
	s_cmp_gt_i32 s4, -1
	s_cselect_b32 s4, s5, 0
	s_delay_alu instid0(SALU_CYCLE_1)
	s_cmp_ge_i32 s59, s4
	s_cbranch_scc1 .LBB7_5
; %bb.12:                               ;   in Loop: Header=BB7_6 Depth=1
	s_ashr_i32 s49, s48, 31
	s_and_not1_b32 vcc_lo, exec_lo, s64
	s_lshl_b64 s[44:45], s[48:49], 2
	s_delay_alu instid0(SALU_CYCLE_1)
	s_add_nc_u64 s[4:5], s[14:15], s[44:45]
	s_add_nc_u64 s[46:47], s[30:31], s[44:45]
	v_add_nc_u64_e32 v[6:7], s[4:5], v[2:3]
	v_add_nc_u64_e32 v[12:13], s[46:47], v[2:3]
	s_clause 0x1
	global_load_b32 v8, v[6:7], off offset:8
	global_load_b32 v6, v[12:13], off offset:8
	s_cbranch_vccnz .LBB7_24
; %bb.13:                               ;   in Loop: Header=BB7_6 Depth=1
	v_mov_b32_e32 v10, 1
	s_and_not1_b32 vcc_lo, exec_lo, s68
	s_cbranch_vccnz .LBB7_18
; %bb.14:                               ;   in Loop: Header=BB7_6 Depth=1
	v_mov_b32_e32 v10, 1
	s_mov_b32 s50, -1
	s_wait_xcnt 0x0
	s_and_saveexec_b32 s27, s3
	s_cbranch_execz .LBB7_19
; %bb.15:                               ;   in Loop: Header=BB7_6 Depth=1
	v_mov_b32_e32 v7, 0
	s_mov_b32 s50, 0
.LBB7_16:                               ;   Parent Loop BB7_6 Depth=1
                                        ; =>  This Inner Loop Header: Depth=2
	s_delay_alu instid0(SALU_CYCLE_1) | instskip(SKIP_3) | instid1(SALU_CYCLE_1)
	s_ashr_i32 s51, s50, 31
	s_wait_xcnt 0x0
	v_lshl_add_u64 v[10:11], s[50:51], 2, v[12:13]
	s_add_co_i32 s50, s50, 2
	s_cmp_lg_u32 s69, s50
	global_load_b64 v[10:11], v[10:11], off offset:12
	s_wait_loadcnt 0x0
	v_dual_add_nc_u32 v7, v11, v7 :: v_dual_add_nc_u32 v6, v10, v6
	s_cbranch_scc1 .LBB7_16
; %bb.17:                               ;   in Loop: Header=BB7_6 Depth=1
	s_wait_xcnt 0x0
	s_delay_alu instid0(VALU_DEP_1)
	v_dual_add_nc_u32 v6, v6, v7 :: v_dual_mov_b32 v10, s70
	s_or_not1_b32 s50, s71, exec_lo
	s_or_b32 exec_lo, exec_lo, s27
	s_and_saveexec_b32 s27, s50
	s_cbranch_execnz .LBB7_20
	s_branch .LBB7_23
.LBB7_18:                               ;   in Loop: Header=BB7_6 Depth=1
	s_mov_b32 s50, s67
	s_wait_xcnt 0x0
	s_and_saveexec_b32 s27, s50
	s_cbranch_execnz .LBB7_20
	s_branch .LBB7_23
.LBB7_19:                               ;   in Loop: Header=BB7_6 Depth=1
	s_or_b32 exec_lo, exec_lo, s27
	s_and_saveexec_b32 s27, s50
	s_cbranch_execz .LBB7_23
.LBB7_20:                               ;   in Loop: Header=BB7_6 Depth=1
	v_dual_ashrrev_i32 v11, 31, v10 :: v_dual_sub_nc_u32 v7, s61, v10
	s_delay_alu instid0(VALU_DEP_1) | instskip(NEXT) | instid1(VALU_DEP_1)
	v_lshlrev_b64_e32 v[12:13], 2, v[10:11]
	v_lshl_add_u64 v[12:13], s[48:49], 2, v[12:13]
	s_mov_b32 s48, 0
	s_delay_alu instid0(VALU_DEP_1)
	v_add_nc_u64_e32 v[12:13], v[4:5], v[12:13]
.LBB7_21:                               ;   Parent Loop BB7_6 Depth=1
                                        ; =>  This Inner Loop Header: Depth=2
	global_load_b32 v9, v[12:13], off
	v_add_nc_u32_e32 v7, -1, v7
	s_wait_xcnt 0x0
	v_add_nc_u64_e32 v[12:13], 4, v[12:13]
	s_wait_loadcnt 0x0
	v_add_nc_u32_e32 v6, v9, v6
	v_cmp_eq_u32_e32 vcc_lo, 0, v7
	s_or_b32 s48, vcc_lo, s48
	s_delay_alu instid0(SALU_CYCLE_1)
	s_and_not1_b32 exec_lo, exec_lo, s48
	s_cbranch_execnz .LBB7_21
; %bb.22:                               ;   in Loop: Header=BB7_6 Depth=1
	s_or_b32 exec_lo, exec_lo, s48
.LBB7_23:                               ;   in Loop: Header=BB7_6 Depth=1
	s_delay_alu instid0(SALU_CYCLE_1)
	s_or_b32 exec_lo, exec_lo, s27
.LBB7_24:                               ;   in Loop: Header=BB7_6 Depth=1
	s_wait_loadcnt 0x1
	v_ashrrev_i32_e32 v9, 31, v8
                                        ; implicit-def: $vgpr10_vgpr11
	s_wait_xcnt 0x0
	s_and_saveexec_b32 s27, s2
	s_delay_alu instid0(SALU_CYCLE_1)
	s_xor_b32 s27, exec_lo, s27
	s_cbranch_execz .LBB7_26
; %bb.25:                               ;   in Loop: Header=BB7_6 Depth=1
	v_lshl_add_u64 v[10:11], v[8:9], 2, s[16:17]
	s_delay_alu instid0(VALU_DEP_1)
	v_add_nc_u64_e32 v[10:11], -4, v[10:11]
	s_or_saveexec_b32 s27, s27
	s_wait_loadcnt 0x0
	v_ashrrev_i32_e32 v7, 31, v6
	s_xor_b32 exec_lo, exec_lo, s27
	s_cbranch_execnz .LBB7_27
	s_branch .LBB7_28
.LBB7_26:                               ;   in Loop: Header=BB7_6 Depth=1
	s_or_saveexec_b32 s27, s27
	s_wait_loadcnt 0x0
	v_ashrrev_i32_e32 v7, 31, v6
	s_xor_b32 exec_lo, exec_lo, s27
.LBB7_27:                               ;   in Loop: Header=BB7_6 Depth=1
	s_delay_alu instid0(VALU_DEP_1) | instskip(NEXT) | instid1(VALU_DEP_1)
	v_add_nc_u64_e32 v[10:11], v[8:9], v[6:7]
	v_lshl_add_u64 v[10:11], v[10:11], 2, s[16:17]
	s_delay_alu instid0(VALU_DEP_1)
	v_add_nc_u64_e32 v[10:11], -4, v[10:11]
.LBB7_28:                               ;   in Loop: Header=BB7_6 Depth=1
	s_or_b32 exec_lo, exec_lo, s27
	global_load_b32 v16, v[10:11], off
	s_wait_xcnt 0x0
	v_dual_mov_b32 v10, 0 :: v_dual_mov_b32 v11, 0
	s_mov_b32 s27, exec_lo
	v_cmpx_lt_i32_e64 v20, v6
	s_cbranch_execz .LBB7_34
; %bb.29:                               ;   in Loop: Header=BB7_6 Depth=1
	v_lshl_add_u64 v[12:13], v[8:9], 2, s[20:21]
	v_add_nc_u32_e32 v10, v20, v8
	s_mov_b32 s48, 0
	s_delay_alu instid0(VALU_DEP_2) | instskip(SKIP_1) | instid1(VALU_DEP_2)
	v_lshl_add_u64 v[8:9], v[6:7], 2, v[12:13]
	v_mov_b32_e32 v7, v20
	v_add_nc_u64_e32 v[22:23], -4, v[8:9]
	s_delay_alu instid0(VALU_DEP_1) | instskip(NEXT) | instid1(VALU_DEP_2)
	v_dual_cndmask_b32 v13, v13, v23, s1 :: v_dual_ashrrev_i32 v11, 31, v10
	v_cndmask_b32_e64 v12, v12, v22, s1
	s_delay_alu instid0(VALU_DEP_2) | instskip(SKIP_1) | instid1(VALU_DEP_2)
	v_lshlrev_b64_e32 v[8:9], 2, v[10:11]
	v_mul_lo_u32 v10, s23, v10
	v_add_nc_u64_e32 v[14:15], s[6:7], v[8:9]
.LBB7_30:                               ;   Parent Loop BB7_6 Depth=1
                                        ; =>  This Inner Loop Header: Depth=2
	s_delay_alu instid0(VALU_DEP_2) | instskip(NEXT) | instid1(VALU_DEP_1)
	v_dual_ashrrev_i32 v11, 31, v10 :: v_dual_add_nc_u32 v7, s63, v7
	v_lshl_add_u64 v[22:23], v[10:11], 2, v[12:13]
	v_add_nc_u32_e32 v10, s74, v10
	global_load_b32 v11, v[22:23], off
	s_wait_loadcnt 0x0
	s_wait_xcnt 0x0
	v_cvt_f64_f32_e32 v[22:23], v11
	s_delay_alu instid0(VALU_DEP_1) | instskip(SKIP_1) | instid1(VALU_DEP_2)
	v_div_scale_f64 v[24:25], null, s[40:41], s[40:41], v[22:23]
	v_div_scale_f64 v[30:31], vcc_lo, v[22:23], s[40:41], v[22:23]
	v_rcp_f64_e32 v[26:27], v[24:25]
	v_nop
	s_delay_alu instid0(TRANS32_DEP_1) | instskip(NEXT) | instid1(VALU_DEP_1)
	v_fma_f64 v[28:29], -v[24:25], v[26:27], 1.0
	v_fmac_f64_e32 v[26:27], v[26:27], v[28:29]
	s_delay_alu instid0(VALU_DEP_1) | instskip(NEXT) | instid1(VALU_DEP_1)
	v_fma_f64 v[28:29], -v[24:25], v[26:27], 1.0
	v_fmac_f64_e32 v[26:27], v[26:27], v[28:29]
	s_delay_alu instid0(VALU_DEP_1) | instskip(NEXT) | instid1(VALU_DEP_1)
	v_mul_f64_e32 v[28:29], v[30:31], v[26:27]
	v_fma_f64 v[24:25], -v[24:25], v[28:29], v[30:31]
	s_delay_alu instid0(VALU_DEP_1) | instskip(SKIP_2) | instid1(VALU_DEP_2)
	v_div_fmas_f64 v[24:25], v[24:25], v[26:27], v[28:29]
	v_cmp_ge_i32_e32 vcc_lo, v7, v6
	s_or_b32 s48, vcc_lo, s48
	v_div_fixup_f64 v[22:23], v[24:25], s[40:41], v[22:23]
	s_delay_alu instid0(VALU_DEP_1)
	v_cvt_f32_f64_e32 v11, v[22:23]
	global_store_b32 v[14:15], v11, off
	s_wait_xcnt 0x0
	v_add_nc_u64_e32 v[14:15], s[34:35], v[14:15]
	s_and_not1_b32 exec_lo, exec_lo, s48
	s_cbranch_execnz .LBB7_30
; %bb.31:                               ;   in Loop: Header=BB7_6 Depth=1
	s_or_b32 exec_lo, exec_lo, s48
	v_dual_mov_b32 v10, 0 :: v_dual_mov_b32 v7, v20
	v_mov_b32_e32 v11, 0
	s_mov_b32 s48, 0
.LBB7_32:                               ;   Parent Loop BB7_6 Depth=1
                                        ; =>  This Inner Loop Header: Depth=2
	v_add_nc_u64_e32 v[12:13], s[12:13], v[8:9]
	v_add_nc_u64_e32 v[14:15], s[6:7], v[8:9]
	v_add_nc_u32_e32 v7, s63, v7
	v_add_nc_u64_e32 v[8:9], s[34:35], v[8:9]
	global_load_b32 v12, v[12:13], off
	global_load_b32 v13, v[14:15], off
	v_cmp_ge_i32_e32 vcc_lo, v7, v6
	s_or_b32 s48, vcc_lo, s48
	s_wait_loadcnt 0x1
	v_cmp_gt_f32_e64 s49, |v12|, v11
	s_delay_alu instid0(VALU_DEP_1) | instskip(SKIP_2) | instid1(VALU_DEP_1)
	v_cndmask_b32_e64 v11, v11, |v12|, s49
	s_wait_loadcnt 0x0
	v_cmp_gt_f32_e64 s49, |v13|, v10
	v_cndmask_b32_e64 v10, v10, |v13|, s49
	s_wait_xcnt 0x0
	s_and_not1_b32 exec_lo, exec_lo, s48
	s_cbranch_execnz .LBB7_32
; %bb.33:                               ;   in Loop: Header=BB7_6 Depth=1
	s_or_b32 exec_lo, exec_lo, s48
.LBB7_34:                               ;   in Loop: Header=BB7_6 Depth=1
	s_delay_alu instid0(SALU_CYCLE_1)
	s_or_b32 exec_lo, exec_lo, s27
	s_mov_b32 s27, s63
	ds_store_b32 v18, v11
	ds_store_b32 v19, v10
	s_wait_storecnt 0x0
	s_wait_loadcnt_dscnt 0x0
	s_barrier_signal -1
	s_barrier_wait -1
	s_branch .LBB7_36
.LBB7_35:                               ;   in Loop: Header=BB7_36 Depth=2
	s_or_b32 exec_lo, exec_lo, s48
	s_lshr_b32 s48, s27, 1
	s_cmp_gt_u32 s27, 1
	s_mov_b32 s27, s48
	s_wait_dscnt 0x0
	s_barrier_signal -1
	s_barrier_wait -1
	s_cbranch_scc0 .LBB7_38
.LBB7_36:                               ;   Parent Loop BB7_6 Depth=1
                                        ; =>  This Inner Loop Header: Depth=2
	s_mov_b32 s48, exec_lo
	v_cmpx_gt_u32_e64 s27, v0
	s_cbranch_execz .LBB7_35
; %bb.37:                               ;   in Loop: Header=BB7_36 Depth=2
	s_lshl_b32 s49, s27, 2
	s_delay_alu instid0(SALU_CYCLE_1)
	v_dual_add_nc_u32 v6, s49, v18 :: v_dual_add_nc_u32 v7, s49, v19
	ds_load_b32 v6, v6
	ds_load_b32 v7, v7
	s_wait_dscnt 0x1
	v_cmp_gt_f32_e32 vcc_lo, v6, v11
	v_cndmask_b32_e32 v11, v11, v6, vcc_lo
	s_wait_dscnt 0x0
	v_cmp_gt_f32_e32 vcc_lo, v7, v10
	v_cndmask_b32_e32 v10, v10, v7, vcc_lo
	ds_store_b32 v18, v11
	ds_store_b32 v19, v10
	s_branch .LBB7_35
.LBB7_38:                               ;   in Loop: Header=BB7_6 Depth=1
	s_add_nc_u64 s[46:47], s[46:47], s[38:39]
	v_mov_b32_e32 v7, s58
	global_load_b32 v8, v1, s[46:47] offset:8
	s_and_not1_b32 vcc_lo, exec_lo, s65
	ds_load_b32 v6, v1
	ds_load_b32 v7, v7
	s_wait_loadcnt 0x0
	v_readfirstlane_b32 s27, v8
	s_cbranch_vccnz .LBB7_46
; %bb.39:                               ;   in Loop: Header=BB7_6 Depth=1
	s_and_b32 vcc_lo, exec_lo, s72
	s_cbranch_vccz .LBB7_43
; %bb.40:                               ;   in Loop: Header=BB7_6 Depth=1
	s_mov_b32 s48, 0
	s_mov_b32 s50, 0
.LBB7_41:                               ;   Parent Loop BB7_6 Depth=1
                                        ; =>  This Inner Loop Header: Depth=2
	s_ashr_i32 s49, s48, 31
	s_delay_alu instid0(SALU_CYCLE_1)
	s_lshl_b64 s[52:53], s[48:49], 2
	s_add_co_i32 s48, s48, 2
	s_add_nc_u64 s[52:53], s[46:47], s[52:53]
	global_load_b64 v[8:9], v1, s[52:53] offset:12
	s_wait_loadcnt 0x0
	v_readfirstlane_b32 s49, v9
	v_readfirstlane_b32 s51, v8
	s_add_co_i32 s50, s49, s50
	s_add_co_i32 s27, s51, s27
	s_cmp_lg_u32 s75, s48
	s_cbranch_scc1 .LBB7_41
; %bb.42:                               ;   in Loop: Header=BB7_6 Depth=1
	s_add_co_i32 s27, s27, s50
	s_mov_b32 s46, s24
	s_branch .LBB7_44
.LBB7_43:                               ;   in Loop: Header=BB7_6 Depth=1
	s_mov_b32 s46, 1
.LBB7_44:                               ;   in Loop: Header=BB7_6 Depth=1
	s_delay_alu instid0(SALU_CYCLE_1) | instskip(NEXT) | instid1(SALU_CYCLE_1)
	s_ashr_i32 s47, s46, 31
	s_lshl_b64 s[48:49], s[46:47], 2
	s_sub_co_i32 s46, s62, s46
	s_add_nc_u64 s[44:45], s[44:45], s[48:49]
	s_delay_alu instid0(SALU_CYCLE_1)
	s_add_nc_u64 s[44:45], s[10:11], s[44:45]
.LBB7_45:                               ;   Parent Loop BB7_6 Depth=1
                                        ; =>  This Inner Loop Header: Depth=2
	global_load_b32 v8, v1, s[44:45]
	s_add_co_i32 s46, s46, -1
	s_wait_xcnt 0x0
	s_add_nc_u64 s[44:45], s[44:45], 4
	s_wait_loadcnt 0x0
	v_readfirstlane_b32 s47, v8
	s_add_co_i32 s27, s47, s27
	s_cmp_eq_u32 s46, 0
	s_cbranch_scc0 .LBB7_45
.LBB7_46:                               ;   in Loop: Header=BB7_6 Depth=1
	s_add_nc_u64 s[4:5], s[4:5], s[38:39]
	s_wait_dscnt 0x0
	v_cmp_gt_f32_e32 vcc_lo, v7, v6
	global_load_b32 v8, v1, s[4:5] offset:8
	s_wait_xcnt 0x0
	s_mov_b32 s4, exec_lo
	v_dual_add_f32 v21, v16, v16 :: v_dual_cndmask_b32 v6, v6, v7
	s_delay_alu instid0(VALU_DEP_1)
	v_mul_f32_e32 v22, s73, v6
	s_wait_loadcnt 0x0
	v_readfirstlane_b32 s44, v8
	v_cmpx_gt_i32_e64 s27, v0
	s_cbranch_execz .LBB7_49
; %bb.47:                               ;   in Loop: Header=BB7_6 Depth=1
	v_mov_b32_e32 v6, v0
	s_mov_b32 s5, 0
.LBB7_48:                               ;   Parent Loop BB7_6 Depth=1
                                        ; =>  This Inner Loop Header: Depth=2
	s_delay_alu instid0(VALU_DEP_1)
	v_dual_add_nc_u32 v7, s44, v6 :: v_dual_add_nc_u32 v6, s33, v6
	global_load_b32 v8, v7, s[6:7] scale_offset
	v_cmp_le_i32_e32 vcc_lo, s27, v6
	s_or_b32 s5, vcc_lo, s5
	s_wait_loadcnt 0x0
	v_mul_f32_e32 v8, v21, v8
	s_delay_alu instid0(VALU_DEP_1) | instskip(NEXT) | instid1(VALU_DEP_1)
	v_cmp_nle_f32_e64 s45, |v8|, v22
	v_cndmask_b32_e64 v8, 0, 1, s45
	global_store_b32 v7, v8, s[18:19] offset:8 scale_offset
	s_wait_xcnt 0x0
	s_and_not1_b32 exec_lo, exec_lo, s5
	s_cbranch_execnz .LBB7_48
.LBB7_49:                               ;   in Loop: Header=BB7_6 Depth=1
	s_or_b32 exec_lo, exec_lo, s4
	s_and_b32 s4, s27, 0x80000001
	s_wait_storecnt 0x0
	s_cmp_eq_u32 s4, 1
	s_barrier_signal -1
	s_cselect_b32 s4, -1, 0
	s_barrier_wait -1
	s_cmp_lg_u32 s4, 0
	s_add_co_ci_u32 s45, s27, 0
	s_delay_alu instid0(SALU_CYCLE_1)
	s_cmp_lt_i32 s45, 2
	s_cbranch_scc1 .LBB7_87
; %bb.50:                               ;   in Loop: Header=BB7_6 Depth=1
	s_lshr_b32 s4, s45, 31
	s_add_co_i32 s47, s45, -1
	s_add_co_i32 s4, s45, s4
	s_add_co_i32 s49, s45, -2
	s_ashr_i32 s46, s4, 1
	s_mov_b32 s50, 0
	v_cmp_gt_i32_e64 s4, s46, v0
	s_add_co_i32 s48, s46, -1
	s_branch .LBB7_52
.LBB7_51:                               ;   in Loop: Header=BB7_52 Depth=2
	s_or_b32 exec_lo, exec_lo, s51
	s_add_co_i32 s50, s50, 1
	s_delay_alu instid0(SALU_CYCLE_1)
	s_cmp_eq_u32 s50, s47
	s_cbranch_scc1 .LBB7_87
.LBB7_52:                               ;   Parent Loop BB7_6 Depth=1
                                        ; =>  This Loop Header: Depth=2
                                        ;       Child Loop BB7_55 Depth 3
                                        ;         Child Loop BB7_86 Depth 4
	s_and_saveexec_b32 s51, s4
	s_cbranch_execz .LBB7_51
; %bb.53:                               ;   in Loop: Header=BB7_52 Depth=2
	v_mov_b32_e32 v23, v0
	s_mov_b32 s52, 0
	s_branch .LBB7_55
.LBB7_54:                               ;   in Loop: Header=BB7_55 Depth=3
	s_wait_xcnt 0x0
	s_or_b32 exec_lo, exec_lo, s53
	v_add_nc_u32_e32 v23, s33, v23
	s_wait_storecnt 0x0
	s_barrier_signal -1
	s_barrier_wait -1
	s_delay_alu instid0(VALU_DEP_1) | instskip(SKIP_1) | instid1(SALU_CYCLE_1)
	v_cmp_le_i32_e32 vcc_lo, s46, v23
	s_or_b32 s52, vcc_lo, s52
	s_and_not1_b32 exec_lo, exec_lo, s52
	s_cbranch_execz .LBB7_51
.LBB7_55:                               ;   Parent Loop BB7_6 Depth=1
                                        ;     Parent Loop BB7_52 Depth=2
                                        ; =>    This Loop Header: Depth=3
                                        ;         Child Loop BB7_86 Depth 4
	v_mov_b32_e32 v7, 0
	s_mov_b32 s5, exec_lo
	v_cmpx_ne_u32_e32 0, v23
	s_cbranch_execz .LBB7_63
; %bb.56:                               ;   in Loop: Header=BB7_55 Depth=3
	v_subrev_nc_u32_e32 v6, s50, v23
	s_mov_b32 s53, exec_lo
	s_delay_alu instid0(VALU_DEP_1)
	v_lshlrev_b32_e32 v7, 1, v6
	v_cmpx_ge_u32_e64 s50, v23
	s_cbranch_execz .LBB7_62
; %bb.57:                               ;   in Loop: Header=BB7_55 Depth=3
	v_add_nc_u32_e32 v8, s48, v23
	s_mov_b32 s54, exec_lo
	s_delay_alu instid0(VALU_DEP_1)
	v_cmpx_le_i32_e64 s50, v8
	s_xor_b32 s54, exec_lo, s54
; %bb.58:                               ;   in Loop: Header=BB7_55 Depth=3
	v_sub_nc_u32_e32 v7, 1, v7
                                        ; implicit-def: $vgpr6
; %bb.59:                               ;   in Loop: Header=BB7_55 Depth=3
	s_and_not1_saveexec_b32 s54, s54
; %bb.60:                               ;   in Loop: Header=BB7_55 Depth=3
	v_add_lshl_u32 v7, v6, s47, 1
; %bb.61:                               ;   in Loop: Header=BB7_55 Depth=3
	s_or_b32 exec_lo, exec_lo, s54
.LBB7_62:                               ;   in Loop: Header=BB7_55 Depth=3
	s_delay_alu instid0(SALU_CYCLE_1)
	s_or_b32 exec_lo, exec_lo, s53
.LBB7_63:                               ;   in Loop: Header=BB7_55 Depth=3
	s_delay_alu instid0(SALU_CYCLE_1) | instskip(SKIP_1) | instid1(VALU_DEP_1)
	s_or_b32 exec_lo, exec_lo, s5
	v_dual_sub_nc_u32 v8, s46, v23 :: v_dual_add_nc_u32 v6, s50, v23
	v_cmp_ge_i32_e32 vcc_lo, s50, v8
                                        ; implicit-def: $vgpr8
	s_and_saveexec_b32 s5, vcc_lo
	s_delay_alu instid0(SALU_CYCLE_1)
	s_xor_b32 s5, exec_lo, s5
	s_cbranch_execz .LBB7_69
; %bb.64:                               ;   in Loop: Header=BB7_55 Depth=3
	v_sub_nc_u32_e32 v8, s49, v23
	s_delay_alu instid0(VALU_DEP_1) | instskip(SKIP_1) | instid1(SALU_CYCLE_1)
	v_cmp_le_i32_e32 vcc_lo, s50, v8
                                        ; implicit-def: $vgpr8
	s_and_saveexec_b32 s53, vcc_lo
	s_xor_b32 s53, exec_lo, s53
; %bb.65:                               ;   in Loop: Header=BB7_55 Depth=3
	v_sub_nc_u32_e32 v6, s47, v6
	s_delay_alu instid0(VALU_DEP_1)
	v_lshlrev_b32_e32 v8, 1, v6
                                        ; implicit-def: $vgpr6
; %bb.66:                               ;   in Loop: Header=BB7_55 Depth=3
	s_and_not1_saveexec_b32 s53, s53
; %bb.67:                               ;   in Loop: Header=BB7_55 Depth=3
	v_subrev_nc_u32_e32 v6, s45, v6
	s_delay_alu instid0(VALU_DEP_1)
	v_lshl_add_u32 v8, v6, 1, 3
; %bb.68:                               ;   in Loop: Header=BB7_55 Depth=3
	s_or_b32 exec_lo, exec_lo, s53
                                        ; implicit-def: $vgpr6
.LBB7_69:                               ;   in Loop: Header=BB7_55 Depth=3
	s_and_not1_saveexec_b32 s5, s5
; %bb.70:                               ;   in Loop: Header=BB7_55 Depth=3
	v_lshl_or_b32 v8, v6, 1, 1
; %bb.71:                               ;   in Loop: Header=BB7_55 Depth=3
	s_or_b32 exec_lo, exec_lo, s5
	s_delay_alu instid0(VALU_DEP_1) | instskip(SKIP_1) | instid1(VALU_DEP_1)
	v_min_i32_e32 v6, v7, v8
	s_mov_b32 s53, exec_lo
	v_add_nc_u32_e32 v6, s44, v6
	global_load_b32 v9, v6, s[18:19] offset:8 scale_offset
	s_wait_loadcnt 0x0
	v_cmpx_eq_u32_e32 1, v9
	s_cbranch_execz .LBB7_54
; %bb.72:                               ;   in Loop: Header=BB7_55 Depth=3
	v_max_i32_e32 v7, v7, v8
	s_delay_alu instid0(VALU_DEP_1)
	v_add_nc_u32_e32 v8, s44, v7
	v_cmp_gt_i32_e64 s5, s27, v7
	global_load_b32 v9, v8, s[18:19] offset:8 scale_offset
	s_wait_loadcnt 0x0
	v_cmp_eq_u32_e32 vcc_lo, 1, v9
	s_and_b32 s5, vcc_lo, s5
	s_delay_alu instid0(SALU_CYCLE_1)
	s_and_b32 exec_lo, exec_lo, s5
	s_cbranch_execz .LBB7_54
; %bb.73:                               ;   in Loop: Header=BB7_55 Depth=3
	v_dual_ashrrev_i32 v7, 31, v6 :: v_dual_ashrrev_i32 v9, 31, v8
	s_delay_alu instid0(VALU_DEP_1) | instskip(NEXT) | instid1(VALU_DEP_2)
	v_lshl_add_u64 v[10:11], v[6:7], 2, s[12:13]
	v_lshl_add_u64 v[12:13], v[8:9], 2, s[12:13]
	s_clause 0x1
	global_load_b32 v10, v[10:11], off
	global_load_b32 v11, v[12:13], off
	s_wait_loadcnt 0x0
	v_sub_f32_e32 v10, v10, v11
	s_delay_alu instid0(VALU_DEP_1)
	v_cmp_le_f32_e64 s5, |v10|, v22
	s_and_b32 exec_lo, exec_lo, s5
	s_cbranch_execz .LBB7_54
; %bb.74:                               ;   in Loop: Header=BB7_55 Depth=3
	v_lshl_add_u64 v[10:11], v[8:9], 2, s[6:7]
	v_lshl_add_u64 v[12:13], v[6:7], 2, s[6:7]
	;; [unrolled: 1-line block ×3, first 2 shown]
	v_dual_mov_b32 v17, 0 :: v_dual_mov_b32 v16, 1.0
	s_clause 0x1
	global_load_b32 v15, v[10:11], off
	global_load_b32 v14, v[12:13], off
	s_mov_b32 s54, exec_lo
	global_store_b32 v[24:25], v1, off offset:8
	s_wait_loadcnt 0x1
	s_wait_xcnt 0x0
	v_cmpx_neq_f32_e32 0, v15
	s_cbranch_execz .LBB7_84
; %bb.75:                               ;   in Loop: Header=BB7_55 Depth=3
	v_xor_b32_e32 v7, 0x80000000, v15
                                        ; implicit-def: $vgpr17
	s_mov_b32 s5, exec_lo
	s_wait_loadcnt 0x0
	v_cmpx_neq_f32_e32 0, v14
	s_xor_b32 s55, exec_lo, s5
	s_cbranch_execz .LBB7_81
; %bb.76:                               ;   in Loop: Header=BB7_55 Depth=3
	s_mov_b32 s56, exec_lo
                                        ; implicit-def: $vgpr17
	v_cmpx_ngt_f32_e64 |v15|, |v14|
	s_xor_b32 s56, exec_lo, s56
	s_cbranch_execz .LBB7_78
; %bb.77:                               ;   in Loop: Header=BB7_55 Depth=3
	v_div_scale_f32 v7, null, v14, v14, -v15
	v_div_scale_f32 v17, vcc_lo, -v15, v14, -v15
	s_delay_alu instid0(VALU_DEP_2) | instskip(SKIP_1) | instid1(TRANS32_DEP_1)
	v_rcp_f32_e32 v9, v7
	v_nop
	v_fma_f32 v16, -v7, v9, 1.0
	s_delay_alu instid0(VALU_DEP_1) | instskip(NEXT) | instid1(VALU_DEP_1)
	v_fmac_f32_e32 v9, v16, v9
	v_mul_f32_e32 v16, v17, v9
	s_delay_alu instid0(VALU_DEP_1) | instskip(NEXT) | instid1(VALU_DEP_1)
	v_fma_f32 v24, -v7, v16, v17
	v_fmac_f32_e32 v16, v24, v9
	s_delay_alu instid0(VALU_DEP_1) | instskip(NEXT) | instid1(VALU_DEP_1)
	v_fma_f32 v7, -v7, v16, v17
	v_div_fmas_f32 v7, v7, v9, v16
	s_delay_alu instid0(VALU_DEP_1) | instskip(NEXT) | instid1(VALU_DEP_1)
	v_div_fixup_f32 v7, v7, v14, -v15
	v_fma_f32 v9, v7, v7, 1.0
	s_delay_alu instid0(VALU_DEP_1) | instskip(SKIP_1) | instid1(VALU_DEP_2)
	v_mul_f32_e32 v16, 0x4f800000, v9
	v_cmp_gt_f32_e32 vcc_lo, 0xf800000, v9
	v_cndmask_b32_e32 v9, v9, v16, vcc_lo
	s_delay_alu instid0(VALU_DEP_1) | instskip(SKIP_1) | instid1(TRANS32_DEP_1)
	v_sqrt_f32_e32 v16, v9
	v_nop
	v_dual_add_nc_u32 v17, -1, v16 :: v_dual_add_nc_u32 v24, 1, v16
	s_delay_alu instid0(VALU_DEP_1) | instskip(NEXT) | instid1(VALU_DEP_1)
	v_dual_fma_f32 v25, -v17, v16, v9 :: v_dual_fma_f32 v26, -v24, v16, v9
	v_cmp_ge_f32_e64 s5, 0, v25
	s_delay_alu instid0(VALU_DEP_1) | instskip(NEXT) | instid1(VALU_DEP_3)
	v_cndmask_b32_e64 v16, v16, v17, s5
	v_cmp_lt_f32_e64 s5, 0, v26
	s_delay_alu instid0(VALU_DEP_1) | instskip(NEXT) | instid1(VALU_DEP_1)
	v_cndmask_b32_e64 v16, v16, v24, s5
	v_mul_f32_e32 v17, 0x37800000, v16
	s_delay_alu instid0(VALU_DEP_1) | instskip(SKIP_1) | instid1(VALU_DEP_2)
	v_cndmask_b32_e32 v16, v16, v17, vcc_lo
	v_cmp_class_f32_e64 vcc_lo, v9, 0x260
	v_cndmask_b32_e32 v9, v16, v9, vcc_lo
	s_delay_alu instid0(VALU_DEP_1) | instskip(NEXT) | instid1(VALU_DEP_1)
	v_div_scale_f32 v16, null, v9, v9, 1.0
	v_rcp_f32_e32 v17, v16
	v_nop
	s_delay_alu instid0(TRANS32_DEP_1) | instskip(NEXT) | instid1(VALU_DEP_1)
	v_fma_f32 v24, -v16, v17, 1.0
	v_fmac_f32_e32 v17, v24, v17
	v_div_scale_f32 v24, vcc_lo, 1.0, v9, 1.0
	s_delay_alu instid0(VALU_DEP_1) | instskip(NEXT) | instid1(VALU_DEP_1)
	v_mul_f32_e32 v25, v24, v17
	v_fma_f32 v26, -v16, v25, v24
	s_delay_alu instid0(VALU_DEP_1) | instskip(NEXT) | instid1(VALU_DEP_1)
	v_fmac_f32_e32 v25, v26, v17
	v_fma_f32 v16, -v16, v25, v24
	s_delay_alu instid0(VALU_DEP_1) | instskip(NEXT) | instid1(VALU_DEP_1)
	v_div_fmas_f32 v16, v16, v17, v25
	v_div_fixup_f32 v16, v16, v9, 1.0
	s_delay_alu instid0(VALU_DEP_1)
	v_mul_f32_e32 v17, v7, v16
.LBB7_78:                               ;   in Loop: Header=BB7_55 Depth=3
	s_and_not1_saveexec_b32 s56, s56
	s_cbranch_execz .LBB7_80
; %bb.79:                               ;   in Loop: Header=BB7_55 Depth=3
	v_div_scale_f32 v7, null, v15, v15, -v14
	v_div_scale_f32 v17, vcc_lo, -v14, v15, -v14
	s_delay_alu instid0(VALU_DEP_2) | instskip(SKIP_1) | instid1(TRANS32_DEP_1)
	v_rcp_f32_e32 v9, v7
	v_nop
	v_fma_f32 v16, -v7, v9, 1.0
	s_delay_alu instid0(VALU_DEP_1) | instskip(NEXT) | instid1(VALU_DEP_1)
	v_fmac_f32_e32 v9, v16, v9
	v_mul_f32_e32 v16, v17, v9
	s_delay_alu instid0(VALU_DEP_1) | instskip(NEXT) | instid1(VALU_DEP_1)
	v_fma_f32 v24, -v7, v16, v17
	v_fmac_f32_e32 v16, v24, v9
	s_delay_alu instid0(VALU_DEP_1) | instskip(NEXT) | instid1(VALU_DEP_1)
	v_fma_f32 v7, -v7, v16, v17
	v_div_fmas_f32 v7, v7, v9, v16
	s_delay_alu instid0(VALU_DEP_1) | instskip(NEXT) | instid1(VALU_DEP_1)
	v_div_fixup_f32 v7, v7, v15, -v14
	v_fma_f32 v9, v7, v7, 1.0
	s_delay_alu instid0(VALU_DEP_1) | instskip(SKIP_1) | instid1(VALU_DEP_2)
	v_mul_f32_e32 v16, 0x4f800000, v9
	v_cmp_gt_f32_e32 vcc_lo, 0xf800000, v9
	v_cndmask_b32_e32 v9, v9, v16, vcc_lo
	s_delay_alu instid0(VALU_DEP_1) | instskip(SKIP_1) | instid1(TRANS32_DEP_1)
	v_sqrt_f32_e32 v16, v9
	v_nop
	v_dual_add_nc_u32 v17, -1, v16 :: v_dual_add_nc_u32 v24, 1, v16
	s_delay_alu instid0(VALU_DEP_1) | instskip(NEXT) | instid1(VALU_DEP_1)
	v_dual_fma_f32 v25, -v17, v16, v9 :: v_dual_fma_f32 v26, -v24, v16, v9
	v_cmp_ge_f32_e64 s5, 0, v25
	s_delay_alu instid0(VALU_DEP_1) | instskip(NEXT) | instid1(VALU_DEP_3)
	v_cndmask_b32_e64 v16, v16, v17, s5
	v_cmp_lt_f32_e64 s5, 0, v26
	s_delay_alu instid0(VALU_DEP_1) | instskip(NEXT) | instid1(VALU_DEP_1)
	v_cndmask_b32_e64 v16, v16, v24, s5
	v_mul_f32_e32 v17, 0x37800000, v16
	s_delay_alu instid0(VALU_DEP_1) | instskip(SKIP_1) | instid1(VALU_DEP_2)
	v_cndmask_b32_e32 v16, v16, v17, vcc_lo
	v_cmp_class_f32_e64 vcc_lo, v9, 0x260
	v_cndmask_b32_e32 v9, v16, v9, vcc_lo
	s_delay_alu instid0(VALU_DEP_1) | instskip(NEXT) | instid1(VALU_DEP_1)
	v_div_scale_f32 v16, null, v9, v9, 1.0
	v_rcp_f32_e32 v17, v16
	v_nop
	s_delay_alu instid0(TRANS32_DEP_1) | instskip(NEXT) | instid1(VALU_DEP_1)
	v_fma_f32 v24, -v16, v17, 1.0
	v_fmac_f32_e32 v17, v24, v17
	v_div_scale_f32 v24, vcc_lo, 1.0, v9, 1.0
	s_delay_alu instid0(VALU_DEP_1) | instskip(NEXT) | instid1(VALU_DEP_1)
	v_mul_f32_e32 v25, v24, v17
	v_fma_f32 v26, -v16, v25, v24
	s_delay_alu instid0(VALU_DEP_1) | instskip(NEXT) | instid1(VALU_DEP_1)
	v_fmac_f32_e32 v25, v26, v17
	v_fma_f32 v16, -v16, v25, v24
	s_delay_alu instid0(VALU_DEP_1) | instskip(NEXT) | instid1(VALU_DEP_1)
	v_div_fmas_f32 v16, v16, v17, v25
	v_div_fixup_f32 v17, v16, v9, 1.0
	s_delay_alu instid0(VALU_DEP_1)
	v_mul_f32_e32 v16, v7, v17
.LBB7_80:                               ;   in Loop: Header=BB7_55 Depth=3
	s_or_b32 exec_lo, exec_lo, s56
	s_delay_alu instid0(VALU_DEP_1) | instskip(NEXT) | instid1(VALU_DEP_1)
	v_pk_mul_f32 v[14:15], v[14:15], v[16:17]
	v_sub_f32_e32 v7, v14, v15
.LBB7_81:                               ;   in Loop: Header=BB7_55 Depth=3
	s_and_not1_saveexec_b32 s5, s55
; %bb.82:                               ;   in Loop: Header=BB7_55 Depth=3
	v_dual_mov_b32 v16, 0 :: v_dual_mov_b32 v17, 1.0
; %bb.83:                               ;   in Loop: Header=BB7_55 Depth=3
	s_or_b32 exec_lo, exec_lo, s5
	s_delay_alu instid0(VALU_DEP_2)
	v_mov_b32_e32 v14, v7
.LBB7_84:                               ;   in Loop: Header=BB7_55 Depth=3
	s_or_b32 exec_lo, exec_lo, s54
	s_delay_alu instid0(SALU_CYCLE_1)
	s_and_not1_b32 vcc_lo, exec_lo, s66
	s_wait_loadcnt 0x0
	s_clause 0x1
	global_store_b32 v[12:13], v14, off
	global_store_b32 v[10:11], v1, off
	s_cbranch_vccnz .LBB7_54
; %bb.85:                               ;   in Loop: Header=BB7_55 Depth=3
	v_mul_lo_u32 v8, v8, s23
	s_wait_xcnt 0x0
	v_mul_lo_u32 v10, v6, s23
	s_mov_b32 s5, s25
	s_delay_alu instid0(VALU_DEP_1) | instskip(NEXT) | instid1(VALU_DEP_1)
	v_dual_ashrrev_i32 v9, 31, v8 :: v_dual_ashrrev_i32 v11, 31, v10
	v_lshl_add_u64 v[6:7], v[8:9], 2, s[20:21]
	s_delay_alu instid0(VALU_DEP_2)
	v_lshl_add_u64 v[8:9], v[10:11], 2, s[20:21]
.LBB7_86:                               ;   Parent Loop BB7_6 Depth=1
                                        ;     Parent Loop BB7_52 Depth=2
                                        ;       Parent Loop BB7_55 Depth=3
                                        ; =>      This Inner Loop Header: Depth=4
	global_load_b32 v10, v[6:7], off
	global_load_b32 v11, v[8:9], off
	s_add_co_i32 s5, s5, -1
	s_delay_alu instid0(SALU_CYCLE_1) | instskip(SKIP_3) | instid1(VALU_DEP_1)
	s_cmp_lg_u32 s5, 0
	s_wait_loadcnt 0x1
	v_dual_mul_f32 v12, v17, v10 :: v_dual_mul_f32 v10, v16, v10
	s_wait_loadcnt 0x0
	v_dual_fma_f32 v12, v16, v11, -v12 :: v_dual_fmac_f32 v10, v17, v11
	global_store_b32 v[8:9], v12, off
	global_store_b32 v[6:7], v10, off
	s_wait_xcnt 0x0
	v_add_nc_u64_e32 v[6:7], 4, v[6:7]
	v_add_nc_u64_e32 v[8:9], 4, v[8:9]
	s_cbranch_scc1 .LBB7_86
	s_branch .LBB7_54
.LBB7_87:                               ;   in Loop: Header=BB7_6 Depth=1
	s_cmp_lt_i32 s27, 1
	s_cbranch_scc1 .LBB7_5
; %bb.88:                               ;   in Loop: Header=BB7_6 Depth=1
	s_mul_i32 s4, s44, s25
	s_ashr_i32 s45, s44, 31
	s_ashr_i32 s5, s4, 31
	s_lshl_b64 s[52:53], s[44:45], 2
	s_lshl_b64 s[4:5], s[4:5], 2
	s_add_nc_u64 s[48:49], s[6:7], s[52:53]
	s_add_nc_u64 s[46:47], s[8:9], s[4:5]
	v_cmp_gt_f32_e64 s4, 0, v21
	s_add_nc_u64 s[44:45], s[12:13], s[52:53]
	s_add_nc_u64 s[50:51], s[36:37], s[52:53]
	;; [unrolled: 1-line block ×3, first 2 shown]
	s_mov_b32 s5, 0
	s_mov_b64 s[54:55], s[48:49]
	s_mov_b32 s56, 0
	s_branch .LBB7_91
.LBB7_89:                               ;   in Loop: Header=BB7_91 Depth=2
	s_wait_xcnt 0x0
	s_or_b32 exec_lo, exec_lo, s76
	s_add_co_i32 s56, s56, 1
.LBB7_90:                               ;   in Loop: Header=BB7_91 Depth=2
	s_add_co_i32 s5, s5, 1
	s_wait_xcnt 0x0
	s_add_nc_u64 s[52:53], s[52:53], 4
	s_add_nc_u64 s[44:45], s[44:45], 4
	s_cmp_lg_u32 s27, s5
	s_add_nc_u64 s[54:55], s[54:55], 4
	s_cbranch_scc0 .LBB7_5
.LBB7_91:                               ;   Parent Loop BB7_6 Depth=1
                                        ; =>  This Inner Loop Header: Depth=2
	global_load_b32 v6, v1, s[52:53]
	s_wait_loadcnt 0x0
	v_cmp_ne_u32_e32 vcc_lo, 1, v6
	s_cbranch_vccnz .LBB7_90
; %bb.92:                               ;   in Loop: Header=BB7_91 Depth=2
	s_wait_xcnt 0x0
	s_and_saveexec_b32 s76, s0
	s_cbranch_execz .LBB7_89
; %bb.93:                               ;   in Loop: Header=BB7_91 Depth=2
	global_load_b32 v6, v1, s[44:45]
	v_dual_mov_b32 v7, s56 :: v_dual_mov_b32 v8, s5
	s_cmp_eq_u32 s5, s56
	s_wait_loadcnt 0x0
	v_cndmask_b32_e64 v6, v6, -v6, s4
	s_clause 0x1
	global_store_b32 v7, v8, s[50:51] offset:8 scale_offset
	global_store_b32 v7, v6, s[46:47] scale_offset
	s_cbranch_scc1 .LBB7_89
; %bb.94:                               ;   in Loop: Header=BB7_91 Depth=2
	global_load_b32 v6, v1, s[54:55]
	s_ashr_i32 s57, s56, 31
	s_delay_alu instid0(SALU_CYCLE_1) | instskip(NEXT) | instid1(SALU_CYCLE_1)
	s_lshl_b64 s[78:79], s[56:57], 2
	s_add_nc_u64 s[78:79], s[48:49], s[78:79]
	s_wait_loadcnt 0x0
	global_store_b32 v1, v6, s[78:79]
	s_branch .LBB7_89
.LBB7_95:
	s_endpgm
.LBB7_96:
	s_mov_b32 s39, -1
                                        ; implicit-def: $sgpr20_sgpr21
	s_branch .LBB7_2
	.section	.rodata,"a",@progbits
	.p2align	6, 0x0
	.amdhsa_kernel _ZN9rocsolver6v33100L26stedcx_mergePrepare_kernelIfEEviiPT_lS3_lS3_iilS3_S3_PiS2_
		.amdhsa_group_segment_fixed_size 0
		.amdhsa_private_segment_fixed_size 0
		.amdhsa_kernarg_size 352
		.amdhsa_user_sgpr_count 2
		.amdhsa_user_sgpr_dispatch_ptr 0
		.amdhsa_user_sgpr_queue_ptr 0
		.amdhsa_user_sgpr_kernarg_segment_ptr 1
		.amdhsa_user_sgpr_dispatch_id 0
		.amdhsa_user_sgpr_kernarg_preload_length 0
		.amdhsa_user_sgpr_kernarg_preload_offset 0
		.amdhsa_user_sgpr_private_segment_size 0
		.amdhsa_wavefront_size32 1
		.amdhsa_uses_dynamic_stack 0
		.amdhsa_enable_private_segment 0
		.amdhsa_system_sgpr_workgroup_id_x 1
		.amdhsa_system_sgpr_workgroup_id_y 1
		.amdhsa_system_sgpr_workgroup_id_z 1
		.amdhsa_system_sgpr_workgroup_info 0
		.amdhsa_system_vgpr_workitem_id 0
		.amdhsa_next_free_vgpr 32
		.amdhsa_next_free_sgpr 80
		.amdhsa_named_barrier_count 0
		.amdhsa_reserve_vcc 1
		.amdhsa_float_round_mode_32 0
		.amdhsa_float_round_mode_16_64 0
		.amdhsa_float_denorm_mode_32 3
		.amdhsa_float_denorm_mode_16_64 3
		.amdhsa_fp16_overflow 0
		.amdhsa_memory_ordered 1
		.amdhsa_forward_progress 1
		.amdhsa_inst_pref_size 35
		.amdhsa_round_robin_scheduling 0
		.amdhsa_exception_fp_ieee_invalid_op 0
		.amdhsa_exception_fp_denorm_src 0
		.amdhsa_exception_fp_ieee_div_zero 0
		.amdhsa_exception_fp_ieee_overflow 0
		.amdhsa_exception_fp_ieee_underflow 0
		.amdhsa_exception_fp_ieee_inexact 0
		.amdhsa_exception_int_div_zero 0
	.end_amdhsa_kernel
	.section	.text._ZN9rocsolver6v33100L26stedcx_mergePrepare_kernelIfEEviiPT_lS3_lS3_iilS3_S3_PiS2_,"axG",@progbits,_ZN9rocsolver6v33100L26stedcx_mergePrepare_kernelIfEEviiPT_lS3_lS3_iilS3_S3_PiS2_,comdat
.Lfunc_end7:
	.size	_ZN9rocsolver6v33100L26stedcx_mergePrepare_kernelIfEEviiPT_lS3_lS3_iilS3_S3_PiS2_, .Lfunc_end7-_ZN9rocsolver6v33100L26stedcx_mergePrepare_kernelIfEEviiPT_lS3_lS3_iilS3_S3_PiS2_
                                        ; -- End function
	.set _ZN9rocsolver6v33100L26stedcx_mergePrepare_kernelIfEEviiPT_lS3_lS3_iilS3_S3_PiS2_.num_vgpr, 32
	.set _ZN9rocsolver6v33100L26stedcx_mergePrepare_kernelIfEEviiPT_lS3_lS3_iilS3_S3_PiS2_.num_agpr, 0
	.set _ZN9rocsolver6v33100L26stedcx_mergePrepare_kernelIfEEviiPT_lS3_lS3_iilS3_S3_PiS2_.numbered_sgpr, 80
	.set _ZN9rocsolver6v33100L26stedcx_mergePrepare_kernelIfEEviiPT_lS3_lS3_iilS3_S3_PiS2_.num_named_barrier, 0
	.set _ZN9rocsolver6v33100L26stedcx_mergePrepare_kernelIfEEviiPT_lS3_lS3_iilS3_S3_PiS2_.private_seg_size, 0
	.set _ZN9rocsolver6v33100L26stedcx_mergePrepare_kernelIfEEviiPT_lS3_lS3_iilS3_S3_PiS2_.uses_vcc, 1
	.set _ZN9rocsolver6v33100L26stedcx_mergePrepare_kernelIfEEviiPT_lS3_lS3_iilS3_S3_PiS2_.uses_flat_scratch, 0
	.set _ZN9rocsolver6v33100L26stedcx_mergePrepare_kernelIfEEviiPT_lS3_lS3_iilS3_S3_PiS2_.has_dyn_sized_stack, 0
	.set _ZN9rocsolver6v33100L26stedcx_mergePrepare_kernelIfEEviiPT_lS3_lS3_iilS3_S3_PiS2_.has_recursion, 0
	.set _ZN9rocsolver6v33100L26stedcx_mergePrepare_kernelIfEEviiPT_lS3_lS3_iilS3_S3_PiS2_.has_indirect_call, 0
	.section	.AMDGPU.csdata,"",@progbits
; Kernel info:
; codeLenInByte = 4416
; TotalNumSgprs: 82
; NumVgprs: 32
; ScratchSize: 0
; MemoryBound: 0
; FloatMode: 240
; IeeeMode: 1
; LDSByteSize: 0 bytes/workgroup (compile time only)
; SGPRBlocks: 0
; VGPRBlocks: 1
; NumSGPRsForWavesPerEU: 82
; NumVGPRsForWavesPerEU: 32
; NamedBarCnt: 0
; Occupancy: 16
; WaveLimiterHint : 1
; COMPUTE_PGM_RSRC2:SCRATCH_EN: 0
; COMPUTE_PGM_RSRC2:USER_SGPR: 2
; COMPUTE_PGM_RSRC2:TRAP_HANDLER: 0
; COMPUTE_PGM_RSRC2:TGID_X_EN: 1
; COMPUTE_PGM_RSRC2:TGID_Y_EN: 1
; COMPUTE_PGM_RSRC2:TGID_Z_EN: 1
; COMPUTE_PGM_RSRC2:TIDIG_COMP_CNT: 0
	.section	.text._ZN9rocsolver6v33100L25stedcx_mergeValues_kernelIfEEviiPT_lS3_lS3_S3_PiS2_S2_S2_,"axG",@progbits,_ZN9rocsolver6v33100L25stedcx_mergeValues_kernelIfEEviiPT_lS3_lS3_S3_PiS2_S2_S2_,comdat
	.globl	_ZN9rocsolver6v33100L25stedcx_mergeValues_kernelIfEEviiPT_lS3_lS3_S3_PiS2_S2_S2_ ; -- Begin function _ZN9rocsolver6v33100L25stedcx_mergeValues_kernelIfEEviiPT_lS3_lS3_S3_PiS2_S2_S2_
	.p2align	8
	.type	_ZN9rocsolver6v33100L25stedcx_mergeValues_kernelIfEEviiPT_lS3_lS3_S3_PiS2_S2_S2_,@function
_ZN9rocsolver6v33100L25stedcx_mergeValues_kernelIfEEviiPT_lS3_lS3_S3_PiS2_S2_S2_: ; @_ZN9rocsolver6v33100L25stedcx_mergeValues_kernelIfEEviiPT_lS3_lS3_S3_PiS2_S2_S2_
; %bb.0:
	s_clause 0x1
	s_load_b64 s[16:17], s[0:1], 0x0
	s_load_b64 s[2:3], s[0:1], 0x38
	s_bfe_u32 s5, ttmp6, 0x40010
	s_bfe_u32 s8, ttmp6, 0x40014
	s_and_b32 s4, ttmp7, 0xffff
	s_lshr_b32 s7, ttmp7, 16
	s_add_co_i32 s5, s5, 1
	s_add_co_i32 s8, s8, 1
	s_bfe_u32 s6, ttmp6, 0x40004
	s_bfe_u32 s9, ttmp6, 0x40008
	s_mul_i32 s5, s4, s5
	s_mul_i32 s8, s7, s8
	s_getreg_b32 s21, hwreg(HW_REG_IB_STS2, 6, 4)
	s_add_co_i32 s6, s6, s5
	s_add_co_i32 s9, s9, s8
	s_cmp_eq_u32 s21, 0
	s_mov_b32 s19, 0
	s_cselect_b32 s18, s7, s9
	s_cselect_b32 s20, s4, s6
	s_wait_kmcnt 0x0
	s_mul_i32 s5, s17, 5
	s_ashr_i32 s23, s17, 31
	s_add_co_i32 s4, s5, 2
	s_mov_b32 s22, s17
	s_mul_i32 s4, s4, s18
	s_lshl_b64 s[26:27], s[22:23], 2
	s_ashr_i32 s5, s4, 31
	s_delay_alu instid0(SALU_CYCLE_1) | instskip(NEXT) | instid1(SALU_CYCLE_1)
	s_lshl_b64 s[54:55], s[4:5], 2
	s_add_nc_u64 s[24:25], s[2:3], s[54:55]
	s_delay_alu instid0(SALU_CYCLE_1)
	s_add_nc_u64 s[28:29], s[24:25], s[26:27]
	s_load_b32 s33, s[28:29], 0x4
	s_wait_kmcnt 0x0
	s_cmp_ge_i32 s20, s33
	s_cbranch_scc1 .LBB8_295
; %bb.1:
	s_bfe_u32 s30, ttmp6, 0x4000c
	s_clause 0x1
	s_load_b256 s[4:11], s[0:1], 0x8
	s_load_b128 s[12:15], s[0:1], 0x28
	s_add_co_i32 s30, s30, 1
	s_and_b32 s31, ttmp6, 15
	s_mul_i32 s30, ttmp9, s30
                                        ; implicit-def: $vgpr62 : SGPR spill to VGPR lane
	s_load_b32 s82, s[0:1], 0x40
	s_add_co_i32 s31, s31, s30
	s_cmp_eq_u32 s21, 0
	s_add_nc_u64 s[44:45], s[0:1], 0x50
	s_cselect_b32 s83, ttmp9, s31
	s_add_nc_u64 s[30:31], s[28:29], s[26:27]
	s_lshl_b32 s21, s18, 1
	s_add_nc_u64 s[34:35], s[30:31], s[26:27]
	s_mul_i32 s36, s21, s17
	s_add_nc_u64 s[38:39], s[34:35], s[26:27]
	s_ashr_i32 s37, s36, 31
	v_writelane_b32 v62, s38, 0
	s_lshl_b64 s[36:37], s[36:37], 2
	s_lshl_b32 s85, 2, s16
	v_mul_lo_u32 v54, v0, s22
	s_wait_kmcnt 0x0
	s_mul_u64 s[6:7], s[6:7], s[18:19]
	v_writelane_b32 v62, s39, 1
	s_mul_u64 s[38:39], s[10:11], s[18:19]
	s_mul_i32 s18, s17, s17
	s_add_nc_u64 s[10:11], s[12:13], s[36:37]
	s_mul_i32 s36, s21, s18
	s_lshl_b64 s[6:7], s[6:7], 2
	s_ashr_i32 s37, s36, 31
	s_add_nc_u64 s[12:13], s[4:5], s[6:7]
	s_lshl_b64 s[4:5], s[36:37], 2
	s_lshl_b64 s[36:37], s[18:19], 2
	s_add_nc_u64 s[6:7], s[14:15], s[4:5]
	s_lshl_b64 s[38:39], s[38:39], 2
	s_add_nc_u64 s[40:41], s[6:7], s[36:37]
	s_lshl_b32 s6, 1, s16
	s_not_b32 s17, s16
	s_cmp_gt_i32 s6, 1
	s_mul_i32 s42, s85, s83
	s_cselect_b32 s86, -1, 0
	s_ashr_i32 s43, s42, 31
	v_writelane_b32 v62, s6, 2
	s_cmp_gt_i32 s85, 1
	v_dual_mov_b32 v3, 0 :: v_dual_add_nc_u32 v53, s22, v0
	s_cselect_b32 s87, -1, 0
	s_add_co_i32 s0, s6, -2
	v_dual_lshlrev_b32 v1, 1, v0 :: v_dual_add_nc_u32 v50, 2, v0
	v_writelane_b32 v62, s0, 3
	s_or_b32 s0, s42, 1
	s_cmp_eq_u32 s16, 1
	v_not_b32_e32 v51, v0
	v_cvt_f32_u32_e32 v52, v0
	v_writelane_b32 v62, s0, 4
	s_cselect_b32 s0, -1, 0
	s_cmp_lg_u32 s16, 1
	v_dual_mov_b32 v5, v3 :: v_dual_lshlrev_b32 v4, 2, v0
	v_writelane_b32 v62, s0, 5
	s_cselect_b32 s1, -1, 0
	s_bfm_b32 s0, s16, 0
	v_mov_b32_e32 v7, 0x40400000
	s_and_b32 s92, s0, -2
	v_writelane_b32 v62, s1, 6
	s_or_b32 s1, s0, 1
	s_cmp_lg_u32 s0, s92
	v_mov_b32_e32 v9, 0x41000000
	s_cselect_b32 s0, -1, 0
	v_writelane_b32 v62, s1, 7
	s_cmp_lg_u32 s16, 0
	s_add_nc_u64 s[8:9], s[8:9], s[38:39]
	s_cselect_b32 s95, -1, 0
	s_add_nc_u64 s[38:39], s[10:11], s[26:27]
	v_writelane_b32 v62, s0, 8
	s_add_co_i32 s0, s85, -1
	s_cmp_eq_u32 s22, 1
	s_add_nc_u64 s[56:57], s[10:11], 4
	s_cselect_b32 s97, -1, 0
	v_writelane_b32 v62, s0, 9
	s_add_nc_u64 s[0:1], s[26:27], s[54:55]
	s_lshl_b64 s[48:49], s[42:43], 2
	s_add_nc_u64 s[6:7], s[2:3], s[0:1]
	s_add_nc_u64 s[0:1], s[0:1], s[48:49]
	;; [unrolled: 1-line block ×4, first 2 shown]
	v_writelane_b32 v62, s6, 10
	s_add_nc_u64 s[50:51], s[0:1], 8
	s_add_co_i32 s43, s85, -2
	v_writelane_b32 v62, s7, 11
	s_mul_u64 s[6:7], s[22:23], 12
	s_delay_alu instid0(SALU_CYCLE_1) | instskip(NEXT) | instid1(SALU_CYCLE_1)
	s_add_nc_u64 s[6:7], s[6:7], s[54:55]
	s_add_nc_u64 s[0:1], s[2:3], s[6:7]
	s_lshl_b64 s[6:7], s[22:23], 4
	s_add_nc_u64 s[52:53], s[0:1], 8
	s_add_nc_u64 s[0:1], s[6:7], s[54:55]
	s_delay_alu instid0(SALU_CYCLE_1) | instskip(SKIP_1) | instid1(SALU_CYCLE_1)
	s_add_nc_u64 s[54:55], s[2:3], s[0:1]
	s_add_nc_u64 s[0:1], s[4:5], s[36:37]
	;; [unrolled: 1-line block ×3, first 2 shown]
	s_branch .LBB8_4
.LBB8_2:                                ;   in Loop: Header=BB8_4 Depth=1
	s_or_b32 exec_lo, exec_lo, s18
.LBB8_3:                                ;   in Loop: Header=BB8_4 Depth=1
	s_add_co_i32 s20, s20, 8
	s_delay_alu instid0(SALU_CYCLE_1)
	s_cmp_ge_i32 s20, s33
	s_cbranch_scc1 .LBB8_295
.LBB8_4:                                ; =>This Loop Header: Depth=1
                                        ;     Child Loop BB8_14 Depth 2
                                        ;     Child Loop BB8_19 Depth 2
                                        ;     Child Loop BB8_29 Depth 2
                                        ;     Child Loop BB8_33 Depth 2
                                        ;     Child Loop BB8_37 Depth 2
                                        ;     Child Loop BB8_43 Depth 2
                                        ;     Child Loop BB8_48 Depth 2
                                        ;       Child Loop BB8_51 Depth 3
                                        ;     Child Loop BB8_57 Depth 2
                                        ;       Child Loop BB8_60 Depth 3
                                        ;       Child Loop BB8_64 Depth 3
                                        ;     Child Loop BB8_67 Depth 2
                                        ;     Child Loop BB8_71 Depth 2
                                        ;       Child Loop BB8_76 Depth 3
                                        ;       Child Loop BB8_83 Depth 3
	;; [unrolled: 1-line block ×12, first 2 shown]
                                        ;         Child Loop BB8_201 Depth 4
                                        ;         Child Loop BB8_205 Depth 4
                                        ;       Child Loop BB8_211 Depth 3
                                        ;       Child Loop BB8_229 Depth 3
	;; [unrolled: 1-line block ×6, first 2 shown]
                                        ;         Child Loop BB8_277 Depth 4
                                        ;     Child Loop BB8_287 Depth 2
                                        ;       Child Loop BB8_291 Depth 3
	s_ashr_i32 s21, s20, 31
	s_delay_alu instid0(SALU_CYCLE_1)
	s_lshl_b64 s[0:1], s[20:21], 2
	s_barrier_signal -1
	s_add_nc_u64 s[0:1], s[24:25], s[0:1]
	s_barrier_wait -1
	global_load_b64 v[10:11], v3, s[0:1]
	s_mov_b32 s2, 0
	s_wait_loadcnt 0x0
	s_wait_xcnt 0x0
	v_readfirstlane_b32 s0, v10
	v_readfirstlane_b32 s1, v11
	s_sub_co_i32 s1, s1, s0
	s_delay_alu instid0(SALU_CYCLE_1)
	s_cmp_lt_i32 s1, 3
	s_cbranch_scc1 .LBB8_9
; %bb.5:                                ;   in Loop: Header=BB8_4 Depth=1
	s_cmp_lt_u32 s1, 5
	s_mov_b32 s2, 1
	s_cbranch_scc1 .LBB8_9
; %bb.6:                                ;   in Loop: Header=BB8_4 Depth=1
	s_cmp_lt_u32 s1, 33
	s_mov_b32 s2, 2
	;; [unrolled: 4-line block ×3, first 2 shown]
	s_cbranch_scc1 .LBB8_9
; %bb.8:                                ;   in Loop: Header=BB8_4 Depth=1
	s_cmp_lt_u32 s1, 0x128
	s_cselect_b32 s2, 5, 7
	s_cmp_lt_u32 s1, 0x79b
	s_cselect_b32 s2, s2, 8
.LBB8_9:                                ;   in Loop: Header=BB8_4 Depth=1
	s_delay_alu instid0(SALU_CYCLE_1) | instskip(NEXT) | instid1(SALU_CYCLE_1)
	s_add_co_i32 s1, s2, s17
	s_lshl_b32 s2, 1, s1
	s_cmp_gt_i32 s1, -1
	s_cselect_b32 s1, s2, 0
	s_delay_alu instid0(SALU_CYCLE_1)
	s_cmp_ge_i32 s83, s1
	s_cbranch_scc1 .LBB8_3
; %bb.10:                               ;   in Loop: Header=BB8_4 Depth=1
	s_load_b32 s18, s[44:45], 0xc
	s_wait_kmcnt 0x0
	s_bfe_u32 s21, s18, 0xf0001
	s_delay_alu instid0(SALU_CYCLE_1) | instskip(NEXT) | instid1(SALU_CYCLE_3)
	s_cvt_f32_u32 s1, s21
	v_rcp_iflag_f32_e32 v2, s1
	v_nop
	s_delay_alu instid0(TRANS32_DEP_1) | instskip(NEXT) | instid1(VALU_DEP_1)
	v_mul_f32_e32 v2, v52, v2
	v_trunc_f32_e32 v2, v2
	s_delay_alu instid0(VALU_DEP_1) | instskip(SKIP_1) | instid1(VALU_DEP_2)
	v_fma_f32 v6, -v2, s1, v52
	v_cvt_u32_f32_e32 v2, v2
	v_cmp_ge_f32_e64 vcc_lo, |v6|, s1
	s_ashr_i32 s1, s0, 31
	s_delay_alu instid0(SALU_CYCLE_1) | instskip(NEXT) | instid1(SALU_CYCLE_1)
	s_lshl_b64 s[2:3], s[0:1], 2
	s_add_nc_u64 s[0:1], s[30:31], s[2:3]
	v_add_co_ci_u32_e64 v2, null, 0, v2, vcc_lo
	s_add_nc_u64 s[4:5], s[28:29], s[2:3]
	s_and_not1_b32 vcc_lo, exec_lo, s86
	v_and_b32_e32 v2, 0x7fff, v2
	s_delay_alu instid0(VALU_DEP_1) | instskip(NEXT) | instid1(VALU_DEP_1)
	v_lshlrev_b32_e32 v2, s16, v2
	v_add_nc_u32_e32 v14, s42, v2
	s_clause 0x1
	global_load_b32 v10, v14, s[0:1] offset:8 scale_offset
	global_load_b32 v12, v14, s[4:5] offset:8 scale_offset
	s_cbranch_vccnz .LBB8_22
; %bb.11:                               ;   in Loop: Header=BB8_4 Depth=1
	v_readlane_b32 s6, v62, 6
	v_dual_mov_b32 v16, 1 :: v_dual_ashrrev_i32 v15, 31, v14
	s_and_not1_b32 vcc_lo, exec_lo, s6
	s_cbranch_vccnz .LBB8_16
; %bb.12:                               ;   in Loop: Header=BB8_4 Depth=1
	v_readlane_b32 s6, v62, 4
	s_mov_b32 s7, -1
	s_mov_b32 s23, exec_lo
	v_dual_mov_b32 v16, 1 :: v_dual_add_nc_u32 v2, s6, v2
	v_readlane_b32 s6, v62, 3
	s_delay_alu instid0(VALU_DEP_1) | instskip(SKIP_1) | instid1(VALU_DEP_1)
	v_add_nc_u32_e32 v6, s6, v2
	s_wait_xcnt 0x0
	v_cmpx_ge_i32_e64 v6, v2
	s_cbranch_execz .LBB8_17
; %bb.13:                               ;   in Loop: Header=BB8_4 Depth=1
	v_lshl_add_u64 v[16:17], v[14:15], 2, s[4:5]
	v_mov_b32_e32 v2, 0
	s_mov_b32 s6, 0
.LBB8_14:                               ;   Parent Loop BB8_4 Depth=1
                                        ; =>  This Inner Loop Header: Depth=2
	s_delay_alu instid0(SALU_CYCLE_1) | instskip(SKIP_3) | instid1(SALU_CYCLE_1)
	s_ashr_i32 s7, s6, 31
	s_wait_xcnt 0x0
	v_lshl_add_u64 v[18:19], s[6:7], 2, v[16:17]
	s_add_co_i32 s6, s6, 2
	s_cmp_lg_u32 s92, s6
	global_load_b64 v[18:19], v[18:19], off offset:12
	s_wait_loadcnt 0x0
	v_dual_add_nc_u32 v2, v19, v2 :: v_dual_add_nc_u32 v12, v18, v12
	s_cbranch_scc1 .LBB8_14
; %bb.15:                               ;   in Loop: Header=BB8_4 Depth=1
	v_readlane_b32 s6, v62, 7
	s_delay_alu instid0(VALU_DEP_1)
	v_dual_add_nc_u32 v12, v12, v2 :: v_dual_mov_b32 v16, s6
	v_readlane_b32 s6, v62, 8
	s_or_not1_b32 s7, s6, exec_lo
	s_wait_xcnt 0x0
	s_or_b32 exec_lo, exec_lo, s23
	s_and_saveexec_b32 s6, s7
	s_cbranch_execnz .LBB8_18
	s_branch .LBB8_21
.LBB8_16:                               ;   in Loop: Header=BB8_4 Depth=1
	v_readlane_b32 s7, v62, 5
	s_wait_xcnt 0x0
	s_and_saveexec_b32 s6, s7
	s_cbranch_execnz .LBB8_18
	s_branch .LBB8_21
.LBB8_17:                               ;   in Loop: Header=BB8_4 Depth=1
	s_or_b32 exec_lo, exec_lo, s23
	s_and_saveexec_b32 s6, s7
	s_cbranch_execz .LBB8_21
.LBB8_18:                               ;   in Loop: Header=BB8_4 Depth=1
	v_lshl_add_u64 v[14:15], v[14:15], 2, s[2:3]
	v_readlane_b32 s7, v62, 2
	v_ashrrev_i32_e32 v17, 31, v16
	v_readlane_b32 s36, v62, 10
	v_readlane_b32 s37, v62, 11
	s_delay_alu instid0(VALU_DEP_4) | instskip(NEXT) | instid1(VALU_DEP_4)
	v_sub_nc_u32_e32 v2, s7, v16
	v_lshl_add_u64 v[14:15], v[16:17], 2, v[14:15]
	s_mov_b32 s7, 0
	s_delay_alu instid0(VALU_DEP_1)
	v_add_nc_u64_e32 v[14:15], s[36:37], v[14:15]
.LBB8_19:                               ;   Parent Loop BB8_4 Depth=1
                                        ; =>  This Inner Loop Header: Depth=2
	global_load_b32 v6, v[14:15], off
	v_add_nc_u32_e32 v2, -1, v2
	s_wait_xcnt 0x0
	v_add_nc_u64_e32 v[14:15], 4, v[14:15]
	s_wait_loadcnt 0x0
	v_add_nc_u32_e32 v12, v6, v12
	v_cmp_eq_u32_e32 vcc_lo, 0, v2
	s_or_b32 s7, vcc_lo, s7
	s_delay_alu instid0(SALU_CYCLE_1)
	s_and_not1_b32 exec_lo, exec_lo, s7
	s_cbranch_execnz .LBB8_19
; %bb.20:                               ;   in Loop: Header=BB8_4 Depth=1
	s_or_b32 exec_lo, exec_lo, s7
.LBB8_21:                               ;   in Loop: Header=BB8_4 Depth=1
	s_delay_alu instid0(SALU_CYCLE_1)
	s_or_b32 exec_lo, exec_lo, s6
.LBB8_22:                               ;   in Loop: Header=BB8_4 Depth=1
	s_wait_loadcnt 0x1
	v_ashrrev_i32_e32 v11, 31, v10
	s_mov_b32 s6, exec_lo
                                        ; implicit-def: $vgpr14_vgpr15
	s_wait_xcnt 0x0
	v_cmpx_le_u32_e64 s21, v0
	s_xor_b32 s6, exec_lo, s6
; %bb.23:                               ;   in Loop: Header=BB8_4 Depth=1
	v_lshl_add_u64 v[10:11], v[10:11], 2, s[8:9]
                                        ; implicit-def: $vgpr12
	s_delay_alu instid0(VALU_DEP_1)
	v_add_nc_u64_e32 v[14:15], -4, v[10:11]
                                        ; implicit-def: $vgpr10
; %bb.24:                               ;   in Loop: Header=BB8_4 Depth=1
	s_and_not1_saveexec_b32 s6, s6
	s_cbranch_execz .LBB8_26
; %bb.25:                               ;   in Loop: Header=BB8_4 Depth=1
	s_wait_loadcnt 0x0
	v_ashrrev_i32_e32 v13, 31, v12
	s_delay_alu instid0(VALU_DEP_1) | instskip(NEXT) | instid1(VALU_DEP_1)
	v_add_nc_u64_e32 v[10:11], v[10:11], v[12:13]
	v_lshl_add_u64 v[10:11], v[10:11], 2, s[8:9]
	s_delay_alu instid0(VALU_DEP_1)
	v_add_nc_u64_e32 v[14:15], -4, v[10:11]
.LBB8_26:                               ;   in Loop: Header=BB8_4 Depth=1
	s_or_b32 exec_lo, exec_lo, s6
	s_add_nc_u64 s[4:5], s[4:5], s[48:49]
	s_and_not1_b32 vcc_lo, exec_lo, s87
	global_load_b32 v2, v3, s[4:5] offset:8
	global_load_b32 v6, v[14:15], off
	s_wait_loadcnt 0x1
	v_readfirstlane_b32 s21, v2
	s_cbranch_vccnz .LBB8_34
; %bb.27:                               ;   in Loop: Header=BB8_4 Depth=1
	s_and_b32 vcc_lo, exec_lo, s95
	s_cbranch_vccz .LBB8_31
; %bb.28:                               ;   in Loop: Header=BB8_4 Depth=1
	s_mov_b32 s6, 0
	s_mov_b32 s23, 0
.LBB8_29:                               ;   Parent Loop BB8_4 Depth=1
                                        ; =>  This Inner Loop Header: Depth=2
	s_ashr_i32 s7, s6, 31
	s_delay_alu instid0(SALU_CYCLE_1)
	s_lshl_b64 s[36:37], s[6:7], 2
	s_add_co_i32 s6, s6, 2
	s_add_nc_u64 s[36:37], s[4:5], s[36:37]
	global_load_b64 v[10:11], v3, s[36:37] offset:12
	s_wait_loadcnt 0x0
	v_readfirstlane_b32 s7, v11
	s_wait_xcnt 0x0
	v_readfirstlane_b32 s36, v10
	s_add_co_i32 s23, s7, s23
	s_add_co_i32 s21, s36, s21
	s_cmp_lg_u32 s43, s6
	s_cbranch_scc1 .LBB8_29
; %bb.30:                               ;   in Loop: Header=BB8_4 Depth=1
	s_add_co_i32 s21, s21, s23
	v_readlane_b32 s4, v62, 9
	s_branch .LBB8_32
.LBB8_31:                               ;   in Loop: Header=BB8_4 Depth=1
	s_wait_xcnt 0x1
	s_mov_b32 s4, 1
.LBB8_32:                               ;   in Loop: Header=BB8_4 Depth=1
	s_delay_alu instid0(VALU_DEP_1) | instid1(SALU_CYCLE_1)
	s_ashr_i32 s5, s4, 31
	s_delay_alu instid0(SALU_CYCLE_1) | instskip(SKIP_2) | instid1(SALU_CYCLE_1)
	s_lshl_b64 s[6:7], s[4:5], 2
	s_sub_co_i32 s4, s85, s4
	s_add_nc_u64 s[2:3], s[2:3], s[6:7]
	s_add_nc_u64 s[2:3], s[50:51], s[2:3]
.LBB8_33:                               ;   Parent Loop BB8_4 Depth=1
                                        ; =>  This Inner Loop Header: Depth=2
	global_load_b32 v2, v3, s[2:3]
	s_add_co_i32 s4, s4, -1
	s_wait_xcnt 0x0
	s_add_nc_u64 s[2:3], s[2:3], 4
	s_wait_loadcnt 0x0
	v_readfirstlane_b32 s5, v2
	s_add_co_i32 s21, s5, s21
	s_cmp_eq_u32 s4, 0
	s_cbranch_scc0 .LBB8_33
.LBB8_34:                               ;   in Loop: Header=BB8_4 Depth=1
	s_add_nc_u64 s[0:1], s[0:1], s[48:49]
	s_and_b32 s23, s18, 0xffff
	global_load_b32 v2, v3, s[0:1] offset:8
	s_mov_b32 s99, 0
	s_wait_loadcnt 0x0
	v_readfirstlane_b32 s2, v2
	s_ashr_i32 s3, s2, 31
	s_cmp_gt_i32 s21, 0
	s_cselect_b32 s98, -1, 0
	s_cmp_lt_i32 s21, 1
	s_cbranch_scc1 .LBB8_45
; %bb.35:                               ;   in Loop: Header=BB8_4 Depth=1
	s_cmp_lg_u32 s21, 1
	s_cbranch_scc0 .LBB8_39
; %bb.36:                               ;   in Loop: Header=BB8_4 Depth=1
	s_wait_xcnt 0x0
	s_lshl_b64 s[0:1], s[2:3], 2
	s_and_b32 s18, s21, 0x7ffffffe
	s_add_nc_u64 s[4:5], s[52:53], s[0:1]
	s_mov_b32 s6, 0
	s_mov_b32 s7, s18
	s_mov_b32 s36, 0
.LBB8_37:                               ;   Parent Loop BB8_4 Depth=1
                                        ; =>  This Inner Loop Header: Depth=2
	global_load_b64 v[10:11], v3, s[4:5]
	s_wait_xcnt 0x0
	s_add_nc_u64 s[4:5], s[4:5], 8
	s_wait_loadcnt 0x0
	v_readfirstlane_b32 s37, v10
	v_readfirstlane_b32 s46, v11
	s_cmp_eq_u32 s37, 1
	s_cselect_b32 s37, -1, 0
	s_cmp_eq_u32 s46, 1
	s_cselect_b32 s46, -1, 0
	s_delay_alu instid0(SALU_CYCLE_1) | instskip(SKIP_4) | instid1(SALU_CYCLE_1)
	s_cmp_lg_u32 s46, 0
	s_add_co_ci_u32 s36, s36, 0
	s_cmp_lg_u32 s37, 0
	s_add_co_ci_u32 s6, s6, 0
	s_add_co_i32 s7, s7, -2
	s_cmp_lg_u32 s7, 0
	s_cbranch_scc1 .LBB8_37
; %bb.38:                               ;   in Loop: Header=BB8_4 Depth=1
	s_add_co_i32 s99, s6, s36
	s_cmp_lg_u32 s21, s18
	s_cselect_b32 s5, -1, 0
	s_mov_b32 s4, s99
	s_branch .LBB8_41
.LBB8_39:                               ;   in Loop: Header=BB8_4 Depth=1
	s_wait_xcnt 0x2
	s_mov_b32 s5, 0
                                        ; implicit-def: $sgpr99
                                        ; implicit-def: $sgpr0_sgpr1
	s_mov_b32 s4, s99
	s_cbranch_execz .LBB8_41
; %bb.40:                               ;   in Loop: Header=BB8_4 Depth=1
	s_wait_xcnt 0x0
	s_lshl_b64 s[0:1], s[2:3], 2
	s_mov_b32 s5, -1
	s_mov_b32 s4, 0
	s_mov_b32 s18, 0
.LBB8_41:                               ;   in Loop: Header=BB8_4 Depth=1
	s_and_not1_b32 vcc_lo, exec_lo, s5
	s_cbranch_vccnz .LBB8_45
; %bb.42:                               ;   in Loop: Header=BB8_4 Depth=1
	s_lshl_b64 s[6:7], s[18:19], 2
	s_sub_co_i32 s5, s21, s18
	s_wait_xcnt 0x0
	s_add_nc_u64 s[0:1], s[0:1], s[6:7]
	s_delay_alu instid0(SALU_CYCLE_1)
	s_add_nc_u64 s[0:1], s[52:53], s[0:1]
.LBB8_43:                               ;   Parent Loop BB8_4 Depth=1
                                        ; =>  This Inner Loop Header: Depth=2
	global_load_b32 v2, v3, s[0:1]
	s_wait_xcnt 0x0
	s_add_nc_u64 s[0:1], s[0:1], 4
	s_wait_loadcnt 0x0
	v_readfirstlane_b32 s6, v2
	s_cmp_eq_u32 s6, 1
	s_cselect_b32 s6, -1, 0
	s_delay_alu instid0(SALU_CYCLE_1) | instskip(SKIP_2) | instid1(SALU_CYCLE_1)
	s_cmp_lg_u32 s6, 0
	s_add_co_ci_u32 s4, s4, 0
	s_add_co_i32 s5, s5, -1
	s_cmp_eq_u32 s5, 0
	s_cbranch_scc0 .LBB8_43
; %bb.44:                               ;   in Loop: Header=BB8_4 Depth=1
	s_mov_b32 s99, s4
.LBB8_45:                               ;   in Loop: Header=BB8_4 Depth=1
	s_wait_xcnt 0x0
	s_mul_i32 s0, s2, s22
	s_delay_alu instid0(SALU_CYCLE_1)
	s_ashr_i32 s1, s0, 31
	s_cmp_eq_u32 s99, 0
	s_cbranch_scc1 .LBB8_53
; %bb.46:                               ;   in Loop: Header=BB8_4 Depth=1
	s_lshl_b64 s[6:7], s[2:3], 2
	s_lshl_b64 s[58:59], s[0:1], 2
	s_add_co_i32 s46, s99, -1
	s_lshl_b32 s36, s23, 1
	s_add_nc_u64 s[4:5], s[54:55], s[6:7]
	s_lshl_b32 s18, s23, 3
	s_add_nc_u64 s[6:7], s[56:57], s[6:7]
	s_add_nc_u64 s[58:59], s[14:15], s[58:59]
	s_mov_b32 s37, 0
	s_mov_b32 s47, 0
	s_branch .LBB8_48
.LBB8_47:                               ;   in Loop: Header=BB8_48 Depth=2
	s_or_b32 exec_lo, exec_lo, s62
	s_add_co_i32 s37, s37, 1
	s_xor_b32 s47, s47, -1
	s_cmp_eq_u32 s37, s99
	s_wait_storecnt 0x0
	s_barrier_signal -1
	s_barrier_wait -1
	s_cbranch_scc1 .LBB8_53
.LBB8_48:                               ;   Parent Loop BB8_4 Depth=1
                                        ; =>  This Loop Header: Depth=2
                                        ;       Child Loop BB8_51 Depth 3
	v_and_or_b32 v8, s37, 1, v1
	s_mov_b32 s62, exec_lo
	s_delay_alu instid0(VALU_DEP_1)
	v_cmpx_gt_i32_e64 s46, v8
	s_cbranch_execz .LBB8_47
; %bb.49:                               ;   in Loop: Header=BB8_48 Depth=2
	v_cndmask_b32_e64 v2, 0, 1, s47
	s_mov_b64 s[60:61], 0
	s_mov_b32 s63, 0
	s_delay_alu instid0(VALU_DEP_1) | instskip(NEXT) | instid1(VALU_DEP_1)
	v_add_lshl_u32 v2, v1, v2, 2
	v_add_nc_u64_e32 v[10:11], s[4:5], v[2:3]
	v_add_nc_u64_e32 v[12:13], s[6:7], v[2:3]
	;; [unrolled: 1-line block ×3, first 2 shown]
	s_branch .LBB8_51
.LBB8_50:                               ;   in Loop: Header=BB8_51 Depth=3
	s_wait_xcnt 0x0
	s_or_b32 exec_lo, exec_lo, s64
	v_add_nc_u32_e32 v8, s36, v8
	s_add_nc_u64 s[60:61], s[60:61], s[18:19]
	s_delay_alu instid0(VALU_DEP_1) | instskip(SKIP_1) | instid1(SALU_CYCLE_1)
	v_cmp_le_i32_e32 vcc_lo, s46, v8
	s_or_b32 s63, vcc_lo, s63
	s_and_not1_b32 exec_lo, exec_lo, s63
	s_cbranch_execz .LBB8_47
.LBB8_51:                               ;   Parent Loop BB8_4 Depth=1
                                        ;     Parent Loop BB8_48 Depth=2
                                        ; =>    This Inner Loop Header: Depth=3
	s_delay_alu instid0(VALU_DEP_1)
	v_add_nc_u64_e32 v[16:17], s[60:61], v[14:15]
	s_mov_b32 s64, exec_lo
	global_load_b64 v[18:19], v[16:17], off
	s_wait_loadcnt 0x0
	s_wait_xcnt 0x0
	v_cmpx_gt_f32_e32 v18, v19
	s_cbranch_execz .LBB8_50
; %bb.52:                               ;   in Loop: Header=BB8_51 Depth=3
	v_add_nc_u64_e32 v[22:23], s[60:61], v[12:13]
	v_dual_mov_b32 v20, v19 :: v_dual_mov_b32 v21, v18
	v_add_nc_u64_e32 v[18:19], s[60:61], v[10:11]
	global_store_b64 v[16:17], v[20:21], off
	global_load_b64 v[16:17], v[22:23], off offset:-4
	global_load_b64 v[20:21], v[18:19], off offset:8
	s_wait_loadcnt 0x1
	v_dual_mov_b32 v24, v17 :: v_dual_mov_b32 v25, v16
	s_wait_loadcnt 0x0
	v_dual_mov_b32 v16, v21 :: v_dual_mov_b32 v17, v20
	global_store_b64 v[22:23], v[24:25], off offset:-4
	global_store_b64 v[18:19], v[16:17], off offset:8
	s_branch .LBB8_50
.LBB8_53:                               ;   in Loop: Header=BB8_4 Depth=1
	s_lshl_b64 s[4:5], s[0:1], 2
	v_cmp_gt_u32_e64 s0, s99, v0
	s_add_nc_u64 s[58:59], s[40:41], s[4:5]
	s_add_nc_u64 s[60:61], s[14:15], s[4:5]
	s_and_saveexec_b32 s1, s0
	s_cbranch_execz .LBB8_65
; %bb.54:                               ;   in Loop: Header=BB8_4 Depth=1
	v_dual_add_nc_u32 v2, s21, v0 :: v_dual_mov_b32 v8, v53
	s_mul_i32 s6, s21, s22
	v_dual_mov_b32 v16, v51 :: v_dual_mov_b32 v17, v50
	s_delay_alu instid0(VALU_DEP_2)
	v_dual_mov_b32 v18, v2 :: v_dual_mov_b32 v19, v0
	s_cmp_lt_i32 s22, s6
	s_mov_b32 s18, 0
	s_cselect_b32 s7, -1, 0
	s_mov_b32 s46, 0
	s_branch .LBB8_57
.LBB8_55:                               ;   in Loop: Header=BB8_57 Depth=2
	s_or_b32 exec_lo, exec_lo, s36
.LBB8_56:                               ;   in Loop: Header=BB8_57 Depth=2
	v_dual_add_nc_u32 v19, s23, v19 :: v_dual_add_nc_u32 v18, s23, v18
	v_dual_add_nc_u32 v17, s23, v17 :: v_dual_add_nc_u32 v8, s23, v8
	v_subrev_nc_u32_e32 v16, s23, v16
	s_delay_alu instid0(VALU_DEP_3) | instskip(SKIP_2) | instid1(SALU_CYCLE_1)
	v_cmp_le_u32_e32 vcc_lo, s99, v19
	s_add_co_i32 s46, s46, 1
	s_or_b32 s18, vcc_lo, s18
	s_and_not1_b32 exec_lo, exec_lo, s18
	s_cbranch_execz .LBB8_65
.LBB8_57:                               ;   Parent Loop BB8_4 Depth=1
                                        ; =>  This Loop Header: Depth=2
                                        ;       Child Loop BB8_60 Depth 3
                                        ;       Child Loop BB8_64 Depth 3
	s_and_not1_b32 vcc_lo, exec_lo, s7
	s_cbranch_vccnz .LBB8_56
; %bb.58:                               ;   in Loop: Header=BB8_57 Depth=2
	s_wait_loadcnt 0x0
	global_load_b32 v10, v19, s[58:59] scale_offset
	s_mul_i32 s36, s46, s23
	s_mov_b32 s37, -1
	v_add_nc_u32_e32 v11, s36, v50
	v_subrev_nc_u32_e32 v12, s36, v51
	s_delay_alu instid0(VALU_DEP_2) | instskip(NEXT) | instid1(VALU_DEP_1)
	v_add_max_i32_e64 v11, v2, s36, v11
	v_dual_add_nc_u32 v13, v11, v12 :: v_dual_add_nc_u32 v12, s22, v19
	s_delay_alu instid0(VALU_DEP_1)
	v_cmp_lt_u32_e32 vcc_lo, 1, v13
	s_and_b32 s47, vcc_lo, s97
	s_wait_xcnt 0x0
	s_and_saveexec_b32 s36, s47
	s_cbranch_execz .LBB8_62
; %bb.59:                               ;   in Loop: Header=BB8_57 Depth=2
	v_max_i32_e32 v11, v18, v17
	s_mov_b32 s37, 0
	s_wait_loadcnt 0x0
	s_delay_alu instid0(VALU_DEP_1) | instskip(NEXT) | instid1(VALU_DEP_1)
	v_dual_mov_b32 v11, v10 :: v_dual_add_nc_u32 v14, v11, v16
	v_dual_mov_b32 v14, v8 :: v_dual_bitop2_b32 v20, -2, v14 bitop3:0x40
.LBB8_60:                               ;   Parent Loop BB8_4 Depth=1
                                        ;     Parent Loop BB8_57 Depth=2
                                        ; =>    This Inner Loop Header: Depth=3
	s_delay_alu instid0(VALU_DEP_1) | instskip(NEXT) | instid1(VALU_DEP_1)
	v_dual_add_nc_u32 v20, -2, v20 :: v_dual_ashrrev_i32 v15, 31, v14
	v_cmp_eq_u32_e32 vcc_lo, 0, v20
	s_delay_alu instid0(VALU_DEP_2)
	v_lshl_add_u64 v[22:23], v[14:15], 2, s[58:59]
	v_add_nc_u32_e32 v14, 2, v14
	s_or_b32 s37, vcc_lo, s37
	global_store_b64 v[22:23], v[10:11], off
	s_wait_xcnt 0x0
	s_and_not1_b32 exec_lo, exec_lo, s37
	s_cbranch_execnz .LBB8_60
; %bb.61:                               ;   in Loop: Header=BB8_57 Depth=2
	s_or_b32 exec_lo, exec_lo, s37
	v_and_b32_e32 v11, -2, v13
	s_delay_alu instid0(VALU_DEP_1)
	v_cmp_ne_u32_e32 vcc_lo, v13, v11
	v_add_nc_u32_e32 v12, v12, v11
	s_or_not1_b32 s37, vcc_lo, exec_lo
.LBB8_62:                               ;   in Loop: Header=BB8_57 Depth=2
	s_or_b32 exec_lo, exec_lo, s36
	s_and_saveexec_b32 s36, s37
	s_cbranch_execz .LBB8_55
; %bb.63:                               ;   in Loop: Header=BB8_57 Depth=2
	v_dual_ashrrev_i32 v13, 31, v12 :: v_dual_add_nc_u32 v11, s6, v19
	s_mov_b32 s37, 0
	s_delay_alu instid0(VALU_DEP_1)
	v_lshl_add_u64 v[14:15], v[12:13], 2, s[60:61]
.LBB8_64:                               ;   Parent Loop BB8_4 Depth=1
                                        ;     Parent Loop BB8_57 Depth=2
                                        ; =>    This Inner Loop Header: Depth=3
	v_add_nc_u32_e32 v12, s22, v12
	s_wait_loadcnt 0x0
	global_store_b32 v[14:15], v10, off
	s_wait_xcnt 0x0
	v_add_nc_u64_e32 v[14:15], s[26:27], v[14:15]
	v_cmp_ge_i32_e32 vcc_lo, v12, v11
	s_or_b32 s37, vcc_lo, s37
	s_delay_alu instid0(SALU_CYCLE_1)
	s_and_not1_b32 exec_lo, exec_lo, s37
	s_cbranch_execnz .LBB8_64
	s_branch .LBB8_55
.LBB8_65:                               ;   in Loop: Header=BB8_4 Depth=1
	s_or_b32 exec_lo, exec_lo, s1
	v_cmp_gt_i32_e32 vcc_lo, s21, v0
	s_and_saveexec_b32 s6, vcc_lo
	s_cbranch_execz .LBB8_68
; %bb.66:                               ;   in Loop: Header=BB8_4 Depth=1
	s_wait_loadcnt 0x0
	v_lshl_add_u64 v[10:11], s[2:3], 2, v[4:5]
	v_mov_b32_e32 v2, v0
	s_lshl_b32 s18, s23, 2
	s_mov_b32 s7, 0
.LBB8_67:                               ;   Parent Loop BB8_4 Depth=1
                                        ; =>  This Inner Loop Header: Depth=2
	s_delay_alu instid0(VALU_DEP_2) | instskip(NEXT) | instid1(VALU_DEP_2)
	v_add_nc_u64_e32 v[12:13], s[12:13], v[10:11]
	v_add_nc_u32_e32 v2, s23, v2
	s_delay_alu instid0(VALU_DEP_1)
	v_cmp_le_i32_e64 s1, s21, v2
	global_load_b32 v8, v[12:13], off
	s_wait_xcnt 0x0
	v_add_nc_u64_e32 v[12:13], s[38:39], v[10:11]
	v_add_nc_u64_e32 v[10:11], s[18:19], v[10:11]
	s_or_b32 s7, s1, s7
	s_wait_loadcnt 0x0
	global_store_b32 v[12:13], v8, off
	s_wait_xcnt 0x0
	s_and_not1_b32 exec_lo, exec_lo, s7
	s_cbranch_execnz .LBB8_67
.LBB8_68:                               ;   in Loop: Header=BB8_4 Depth=1
	s_or_b32 exec_lo, exec_lo, s6
	s_lshl_b64 s[64:65], s[2:3], 2
	s_wait_loadcnt 0x0
	s_wait_storecnt 0x0
	s_add_nc_u64 s[62:63], s[10:11], s[64:65]
	s_barrier_signal -1
	s_barrier_wait -1
	s_and_saveexec_b32 s100, vcc_lo
	s_cbranch_execz .LBB8_283
; %bb.69:                               ;   in Loop: Header=BB8_4 Depth=1
	v_add_f32_e32 v2, v6, v6
	s_cmp_lt_i32 s99, 1
	v_mov_b32_e32 v16, v0
	s_cselect_b32 s101, -1, 0
	s_add_co_i32 s70, s99, -1
	v_cmp_gt_f32_e64 s1, 0, v2
	s_add_co_i32 s72, s99, -2
	s_ashr_i32 s71, s70, 31
	s_ashr_i32 s73, s72, 31
	s_cmp_gt_u32 s99, 2
	v_cndmask_b32_e64 v55, v2, -v2, s1
	s_cselect_b32 s102, -1, 0
	s_lshl_b64 s[2:3], s[72:73], 2
	s_lshl_b64 s[6:7], s[70:71], 2
	s_cmp_gt_u32 s99, 1
	v_div_scale_f32 v2, null, v55, v55, 1.0
	v_div_scale_f32 v11, vcc_lo, 1.0, v55, 1.0
	s_cselect_b32 s103, -1, 0
	v_rcp_f32_e32 v6, v2
	s_cmp_lg_u32 s99, 2
	s_add_nc_u64 s[74:75], s[62:63], s[2:3]
	s_cselect_b32 s104, -1, 0
	s_and_b32 vcc_hi, s70, -2
	s_add_nc_u64 s[2:3], s[4:5], s[6:7]
	s_add_nc_u64 s[4:5], s[64:65], s[6:7]
	v_nop
	v_fma_f32 v8, -v2, v6, 1.0
	s_cmp_lg_u32 s70, vcc_hi
	s_add_nc_u64 s[66:67], s[38:39], s[64:65]
	s_add_nc_u64 s[68:69], s[34:35], s[64:65]
	;; [unrolled: 1-line block ×3, first 2 shown]
	v_fmac_f32_e32 v6, v8, v6
	s_cselect_b32 s93, -1, 0
	s_add_nc_u64 s[78:79], s[14:15], s[2:3]
	s_add_nc_u64 s[80:81], s[10:11], s[4:5]
	s_mov_b32 s94, 0
	v_dual_mul_f32 v8, v11, v6 :: v_dual_mov_b32 v10, v54
	s_delay_alu instid0(VALU_DEP_1) | instskip(NEXT) | instid1(VALU_DEP_1)
	v_dual_fma_f32 v12, -v2, v8, v11 :: v_dual_mul_f32 v56, 0.5, v55
	v_fmac_f32_e32 v8, v12, v6
	s_delay_alu instid0(VALU_DEP_1) | instskip(NEXT) | instid1(VALU_DEP_1)
	v_fma_f32 v2, -v2, v8, v11
	v_div_fmas_f32 v2, v2, v6, v8
	s_delay_alu instid0(VALU_DEP_1) | instskip(NEXT) | instid1(VALU_DEP_1)
	v_div_fixup_f32 v12, v2, v55, 1.0
	v_dual_add_f32 v57, v12, v12 :: v_dual_mov_b32 v15, v12
	s_branch .LBB8_71
.LBB8_70:                               ;   in Loop: Header=BB8_71 Depth=2
	s_wait_xcnt 0x0
	s_or_b32 exec_lo, exec_lo, s88
	s_mul_i32 s2, s22, s23
	s_delay_alu instid0(SALU_CYCLE_1) | instskip(NEXT) | instid1(VALU_DEP_1)
	v_dual_add_nc_u32 v16, s23, v16 :: v_dual_add_nc_u32 v10, s2, v10
	v_cmp_le_i32_e32 vcc_lo, s21, v16
	s_or_b32 s94, vcc_lo, s94
	s_delay_alu instid0(SALU_CYCLE_1)
	s_and_not1_b32 exec_lo, exec_lo, s94
	s_cbranch_execz .LBB8_283
.LBB8_71:                               ;   Parent Loop BB8_4 Depth=1
                                        ; =>  This Loop Header: Depth=2
                                        ;       Child Loop BB8_76 Depth 3
                                        ;       Child Loop BB8_83 Depth 3
                                        ;       Child Loop BB8_87 Depth 3
                                        ;       Child Loop BB8_103 Depth 3
                                        ;       Child Loop BB8_107 Depth 3
                                        ;       Child Loop BB8_112 Depth 3
                                        ;       Child Loop BB8_117 Depth 3
                                        ;       Child Loop BB8_120 Depth 3
                                        ;       Child Loop BB8_124 Depth 3
                                        ;       Child Loop BB8_155 Depth 3
                                        ;       Child Loop BB8_159 Depth 3
                                        ;       Child Loop BB8_164 Depth 3
                                        ;         Child Loop BB8_201 Depth 4
                                        ;         Child Loop BB8_205 Depth 4
                                        ;       Child Loop BB8_211 Depth 3
                                        ;       Child Loop BB8_229 Depth 3
	;; [unrolled: 1-line block ×6, first 2 shown]
                                        ;         Child Loop BB8_277 Depth 4
	global_load_b32 v2, v16, s[68:69] offset:8 scale_offset
	v_mov_b32_e32 v17, v3
	s_mov_b32 s88, exec_lo
	s_wait_loadcnt 0x0
	s_wait_xcnt 0x0
	v_cmpx_eq_u32_e32 1, v2
	s_cbranch_execz .LBB8_70
; %bb.72:                               ;   in Loop: Header=BB8_71 Depth=2
	v_mul_lo_u32 v6, v16, s22
	s_and_not1_b32 vcc_lo, exec_lo, s101
	s_mov_b32 s2, -1
                                        ; implicit-def: $vgpr22
	s_cbranch_vccnz .LBB8_74
; %bb.73:                               ;   in Loop: Header=BB8_71 Depth=2
	v_mul_lo_u32 v22, v16, s22
	s_mov_b32 s2, 0
.LBB8_74:                               ;   in Loop: Header=BB8_71 Depth=2
	v_lshl_add_u64 v[18:19], v[16:17], 2, s[66:67]
	v_mov_b32_e32 v2, 0
	s_and_not1_b32 vcc_lo, exec_lo, s2
	s_cbranch_vccnz .LBB8_78
; %bb.75:                               ;   in Loop: Header=BB8_71 Depth=2
	global_load_b32 v8, v[18:19], off
	v_dual_mov_b32 v2, 0 :: v_dual_mov_b32 v11, s99
	s_mov_b32 s3, 0
	s_wait_loadcnt 0x0
	v_cndmask_b32_e64 v8, v8, -v8, s1
.LBB8_76:                               ;   Parent Loop BB8_4 Depth=1
                                        ;     Parent Loop BB8_71 Depth=2
                                        ; =>    This Inner Loop Header: Depth=3
	s_delay_alu instid0(VALU_DEP_2) | instskip(NEXT) | instid1(VALU_DEP_1)
	v_lshrrev_b32_e32 v13, 1, v11
	v_add_nc_u32_e32 v14, v2, v13
	s_delay_alu instid0(VALU_DEP_1)
	v_add_nc_u32_e32 v17, v14, v6
	v_xad_u32 v11, v13, -1, v11
	global_load_b32 v17, v17, s[58:59] scale_offset
	s_wait_loadcnt 0x0
	v_cmp_lt_f32_e32 vcc_lo, v17, v8
	v_dual_cndmask_b32 v11, v13, v11, vcc_lo :: v_dual_add_nc_u32 v13, 1, v14
	s_delay_alu instid0(VALU_DEP_1) | instskip(NEXT) | instid1(VALU_DEP_2)
	v_cmp_gt_i32_e64 s2, 1, v11
	v_cndmask_b32_e32 v2, v2, v13, vcc_lo
	s_or_b32 s3, s2, s3
	s_wait_xcnt 0x0
	s_and_not1_b32 exec_lo, exec_lo, s3
	s_cbranch_execnz .LBB8_76
; %bb.77:                               ;   in Loop: Header=BB8_71 Depth=2
	s_or_b32 exec_lo, exec_lo, s3
	v_mov_b32_e32 v22, v6
.LBB8_78:                               ;   in Loop: Header=BB8_71 Depth=2
	v_ashrrev_i32_e32 v11, 31, v10
	s_delay_alu instid0(VALU_DEP_2) | instskip(SKIP_1) | instid1(VALU_DEP_2)
	v_ashrrev_i32_e32 v23, 31, v22
                                        ; implicit-def: $vgpr17
	s_mov_b32 s2, exec_lo
	v_lshlrev_b64_e32 v[30:31], 2, v[10:11]
	s_delay_alu instid0(VALU_DEP_2) | instskip(NEXT) | instid1(VALU_DEP_2)
	v_lshl_add_u64 v[36:37], v[22:23], 2, s[58:59]
	v_add_nc_u64_e32 v[20:21], s[60:61], v[30:31]
	v_cmpx_ne_u32_e64 s70, v2
	s_xor_b32 s89, exec_lo, s2
	s_cbranch_execnz .LBB8_81
; %bb.79:                               ;   in Loop: Header=BB8_71 Depth=2
	s_and_not1_saveexec_b32 s5, s89
	s_cbranch_execnz .LBB8_209
.LBB8_80:                               ;   in Loop: Header=BB8_71 Depth=2
	s_or_b32 exec_lo, exec_lo, s5
	global_store_b32 v[18:19], v17, off
	s_wait_xcnt 0x0
	s_and_b32 exec_lo, exec_lo, s1
	s_cbranch_execz .LBB8_70
	s_branch .LBB8_282
.LBB8_81:                               ;   in Loop: Header=BB8_71 Depth=2
	v_lshl_add_u64 v[22:23], v[2:3], 2, v[36:37]
	s_mov_b32 s4, exec_lo
	v_mov_b32_e32 v11, 0
	global_load_b64 v[38:39], v[22:23], off
	s_wait_loadcnt 0x0
	v_dual_add_f32 v6, v38, v39 :: v_dual_mov_b32 v24, v39
	s_delay_alu instid0(VALU_DEP_1)
	v_mul_f32_e32 v8, 0.5, v6
	s_wait_xcnt 0x0
	v_cmpx_ne_u32_e32 0, v2
	s_cbranch_execz .LBB8_85
; %bb.82:                               ;   in Loop: Header=BB8_71 Depth=2
	v_mov_b64_e32 v[26:27], v[20:21]
	v_dual_mov_b32 v11, 0 :: v_dual_mov_b32 v6, v2
	s_mov_b32 s5, 0
	s_mov_b64 s[2:3], s[62:63]
.LBB8_83:                               ;   Parent Loop BB8_4 Depth=1
                                        ;     Parent Loop BB8_71 Depth=2
                                        ; =>    This Inner Loop Header: Depth=3
	global_load_b32 v13, v[26:27], off
	global_load_b32 v14, v3, s[2:3]
	s_wait_xcnt 0x1
	v_add_nc_u64_e32 v[26:27], 4, v[26:27]
	s_wait_xcnt 0x0
	s_add_nc_u64 s[2:3], s[2:3], 4
	s_wait_loadcnt 0x1
	v_dual_sub_f32 v13, v13, v8 :: v_dual_add_nc_u32 v6, -1, v6
	s_wait_loadcnt 0x0
	s_delay_alu instid0(VALU_DEP_1) | instskip(NEXT) | instid1(VALU_DEP_1)
	v_div_scale_f32 v17, null, v13, v13, v14
	v_rcp_f32_e32 v25, v17
	v_nop
	s_delay_alu instid0(TRANS32_DEP_1) | instskip(NEXT) | instid1(VALU_DEP_1)
	v_fma_f32 v28, -v17, v25, 1.0
	v_fmac_f32_e32 v25, v28, v25
	v_div_scale_f32 v29, vcc_lo, v14, v13, v14
	s_delay_alu instid0(VALU_DEP_1) | instskip(NEXT) | instid1(VALU_DEP_1)
	v_mul_f32_e32 v28, v29, v25
	v_fma_f32 v32, -v17, v28, v29
	s_delay_alu instid0(VALU_DEP_1) | instskip(NEXT) | instid1(VALU_DEP_1)
	v_fmac_f32_e32 v28, v32, v25
	v_fma_f32 v17, -v17, v28, v29
	s_delay_alu instid0(VALU_DEP_1) | instskip(SKIP_1) | instid1(VALU_DEP_2)
	v_div_fmas_f32 v17, v17, v25, v28
	v_cmp_eq_u32_e32 vcc_lo, 0, v6
	v_div_fixup_f32 v13, v17, v13, v14
	s_or_b32 s5, vcc_lo, s5
	s_delay_alu instid0(VALU_DEP_1)
	v_fmac_f32_e32 v11, v14, v13
	s_and_not1_b32 exec_lo, exec_lo, s5
	s_cbranch_execnz .LBB8_83
; %bb.84:                               ;   in Loop: Header=BB8_71 Depth=2
	s_or_b32 exec_lo, exec_lo, s5
.LBB8_85:                               ;   in Loop: Header=BB8_71 Depth=2
	s_delay_alu instid0(SALU_CYCLE_1) | instskip(SKIP_2) | instid1(VALU_DEP_1)
	s_or_b32 exec_lo, exec_lo, s4
	v_dual_mov_b32 v13, 0 :: v_dual_add_nc_u32 v6, 1, v2
	s_mov_b32 s2, exec_lo
	v_cmpx_gt_i32_e64 s70, v6
	s_cbranch_execz .LBB8_89
; %bb.86:                               ;   in Loop: Header=BB8_71 Depth=2
	v_mov_b32_e32 v13, 0
	s_mov_b32 s3, 0
	s_mov_b32 s18, s70
.LBB8_87:                               ;   Parent Loop BB8_4 Depth=1
                                        ;     Parent Loop BB8_71 Depth=2
                                        ; =>    This Inner Loop Header: Depth=3
	s_delay_alu instid0(SALU_CYCLE_1)
	v_lshl_add_u64 v[26:27], s[18:19], 2, v[36:37]
	v_mov_b32_e32 v14, s18
	s_add_co_i32 s18, s18, -1
	global_load_b32 v17, v[26:27], off
	global_load_b32 v14, v14, s[62:63] scale_offset
	s_wait_loadcnt 0x1
	v_sub_f32_e32 v17, v17, v8
	s_wait_loadcnt 0x0
	s_delay_alu instid0(VALU_DEP_1) | instskip(SKIP_2) | instid1(VALU_DEP_2)
	v_div_scale_f32 v25, null, v17, v17, v14
	v_div_scale_f32 v28, vcc_lo, v14, v17, v14
	s_wait_xcnt 0x1
	v_rcp_f32_e32 v26, v25
	v_nop
	s_delay_alu instid0(TRANS32_DEP_1) | instskip(NEXT) | instid1(VALU_DEP_1)
	v_fma_f32 v27, -v25, v26, 1.0
	v_fmac_f32_e32 v26, v27, v26
	s_delay_alu instid0(VALU_DEP_1) | instskip(NEXT) | instid1(VALU_DEP_1)
	v_mul_f32_e32 v27, v28, v26
	v_fma_f32 v29, -v25, v27, v28
	s_delay_alu instid0(VALU_DEP_1) | instskip(NEXT) | instid1(VALU_DEP_1)
	v_fmac_f32_e32 v27, v29, v26
	v_fma_f32 v25, -v25, v27, v28
	s_delay_alu instid0(VALU_DEP_1) | instskip(SKIP_1) | instid1(VALU_DEP_2)
	v_div_fmas_f32 v25, v25, v26, v27
	v_cmp_le_u32_e32 vcc_lo, s18, v6
	v_div_fixup_f32 v17, v25, v17, v14
	s_or_b32 s3, vcc_lo, s3
	s_delay_alu instid0(VALU_DEP_1)
	v_fmac_f32_e32 v13, v14, v17
	s_wait_xcnt 0x0
	s_and_not1_b32 exec_lo, exec_lo, s3
	s_cbranch_execnz .LBB8_87
; %bb.88:                               ;   in Loop: Header=BB8_71 Depth=2
	s_or_b32 exec_lo, exec_lo, s3
.LBB8_89:                               ;   in Loop: Header=BB8_71 Depth=2
	s_delay_alu instid0(SALU_CYCLE_1)
	s_or_b32 exec_lo, exec_lo, s2
	v_lshl_add_u64 v[26:27], v[2:3], 2, s[62:63]
	v_dual_sub_f32 v8, v39, v38 :: v_dual_add_f32 v11, v12, v11
	global_load_b64 v[28:29], v[26:27], off
	s_wait_loadcnt 0x0
	v_pk_mul_f32 v[32:33], v[28:29], v[28:29]
	s_delay_alu instid0(VALU_DEP_1) | instskip(NEXT) | instid1(VALU_DEP_1)
	v_sub_f32_e32 v14, v33, v32
	v_add_f32_e32 v14, v14, v14
	s_delay_alu instid0(VALU_DEP_1) | instskip(NEXT) | instid1(VALU_DEP_1)
	v_div_scale_f32 v17, null, v8, v8, v14
	v_rcp_f32_e32 v25, v17
	v_nop
	s_delay_alu instid0(TRANS32_DEP_1) | instskip(NEXT) | instid1(VALU_DEP_1)
	v_fma_f32 v28, -v17, v25, 1.0
	v_fmac_f32_e32 v25, v28, v25
	v_div_scale_f32 v29, vcc_lo, v14, v8, v14
	s_delay_alu instid0(VALU_DEP_1) | instskip(NEXT) | instid1(VALU_DEP_1)
	v_mul_f32_e32 v28, v29, v25
	v_fma_f32 v34, -v17, v28, v29
	s_delay_alu instid0(VALU_DEP_1) | instskip(NEXT) | instid1(VALU_DEP_1)
	v_fmac_f32_e32 v28, v34, v25
                                        ; implicit-def: $vgpr34
	v_dual_fma_f32 v17, -v17, v28, v29 :: v_dual_add_f32 v29, v11, v13
	s_delay_alu instid0(VALU_DEP_1) | instskip(NEXT) | instid1(VALU_DEP_2)
	v_div_fmas_f32 v17, v17, v25, v28
	v_mul_f32_e32 v25, v8, v29
	s_delay_alu instid0(VALU_DEP_2) | instskip(NEXT) | instid1(VALU_DEP_1)
	v_div_fixup_f32 v11, v17, v8, v14
                                        ; implicit-def: $vgpr17
                                        ; implicit-def: $vgpr14
	v_add_f32_e32 v11, v29, v11
	s_delay_alu instid0(VALU_DEP_1) | instskip(SKIP_3) | instid1(SALU_CYCLE_1)
	v_cmp_lt_f32_e64 s2, 0, v11
	v_cmp_nlt_f32_e64 s3, 0, v11
                                        ; implicit-def: $vgpr11
	s_wait_xcnt 0x0
	s_and_saveexec_b32 s4, s3
	s_xor_b32 s5, exec_lo, s4
	s_cbranch_execz .LBB8_95
; %bb.90:                               ;   in Loop: Header=BB8_71 Depth=2
	v_dual_mul_f32 v2, v8, v33 :: v_dual_sub_f32 v11, v25, v32
	s_delay_alu instid0(VALU_DEP_1) | instskip(NEXT) | instid1(VALU_DEP_1)
	v_dual_mul_f32 v14, 4.0, v2 :: v_dual_sub_f32 v13, v11, v33
	v_mul_f32_e32 v11, v29, v14
	s_delay_alu instid0(VALU_DEP_1) | instskip(NEXT) | instid1(VALU_DEP_1)
	v_fmac_f32_e32 v11, v13, v13
	v_mul_f32_e64 v14, 0x4f800000, |v11|
	v_cmp_gt_f32_e64 vcc_lo, 0xf800000, |v11|
	s_delay_alu instid0(VALU_DEP_1) | instskip(NEXT) | instid1(VALU_DEP_1)
	v_cndmask_b32_e64 v11, |v11|, v14, vcc_lo
	v_sqrt_f32_e32 v14, v11
	v_nop
	s_delay_alu instid0(TRANS32_DEP_1) | instskip(NEXT) | instid1(VALU_DEP_1)
	v_dual_add_nc_u32 v17, -1, v14 :: v_dual_add_nc_u32 v25, 1, v14
	v_fma_f32 v28, -v17, v14, v11
	s_delay_alu instid0(VALU_DEP_2) | instskip(NEXT) | instid1(VALU_DEP_2)
	v_fma_f32 v32, -v25, v14, v11
	v_cmp_ge_f32_e64 s4, 0, v28
	s_delay_alu instid0(VALU_DEP_1) | instskip(NEXT) | instid1(VALU_DEP_3)
	v_cndmask_b32_e64 v14, v14, v17, s4
	v_cmp_lt_f32_e64 s4, 0, v32
	s_delay_alu instid0(VALU_DEP_1) | instskip(SKIP_1) | instid1(VALU_DEP_1)
	v_cndmask_b32_e64 v14, v14, v25, s4
	s_mov_b32 s4, exec_lo
	v_mul_f32_e32 v17, 0x37800000, v14
	s_delay_alu instid0(VALU_DEP_1) | instskip(SKIP_1) | instid1(VALU_DEP_2)
	v_cndmask_b32_e32 v14, v14, v17, vcc_lo
	v_cmp_class_f32_e64 vcc_lo, v11, 0x260
	v_cndmask_b32_e32 v14, v14, v11, vcc_lo
                                        ; implicit-def: $vgpr11
	v_cmpx_ngt_f32_e32 0, v13
	s_xor_b32 s4, exec_lo, s4
	s_cbranch_execz .LBB8_92
; %bb.91:                               ;   in Loop: Header=BB8_71 Depth=2
	s_delay_alu instid0(VALU_DEP_2) | instskip(SKIP_1) | instid1(VALU_DEP_1)
	v_add_f32_e32 v2, v13, v14
	v_add_f32_e32 v11, v29, v29
	v_div_scale_f32 v13, null, v11, v11, -v2
	s_delay_alu instid0(VALU_DEP_1) | instskip(SKIP_1) | instid1(TRANS32_DEP_1)
	v_rcp_f32_e32 v14, v13
	v_nop
	v_fma_f32 v17, -v13, v14, 1.0
	s_delay_alu instid0(VALU_DEP_1) | instskip(SKIP_1) | instid1(VALU_DEP_1)
	v_fmac_f32_e32 v14, v17, v14
	v_div_scale_f32 v17, vcc_lo, -v2, v11, -v2
	v_mul_f32_e32 v25, v17, v14
	s_delay_alu instid0(VALU_DEP_1) | instskip(NEXT) | instid1(VALU_DEP_1)
	v_fma_f32 v28, -v13, v25, v17
	v_fmac_f32_e32 v25, v28, v14
	s_delay_alu instid0(VALU_DEP_1) | instskip(NEXT) | instid1(VALU_DEP_1)
	v_fma_f32 v13, -v13, v25, v17
	v_div_fmas_f32 v13, v13, v14, v25
                                        ; implicit-def: $vgpr14
	s_delay_alu instid0(VALU_DEP_1)
	v_div_fixup_f32 v11, v13, v11, -v2
                                        ; implicit-def: $vgpr2
                                        ; implicit-def: $vgpr13
.LBB8_92:                               ;   in Loop: Header=BB8_71 Depth=2
	s_and_not1_saveexec_b32 s4, s4
	s_cbranch_execz .LBB8_94
; %bb.93:                               ;   in Loop: Header=BB8_71 Depth=2
	v_add_f32_e32 v2, v2, v2
	v_sub_f32_e32 v11, v13, v14
	s_delay_alu instid0(VALU_DEP_1) | instskip(NEXT) | instid1(VALU_DEP_1)
	v_div_scale_f32 v13, null, v11, v11, v2
	v_rcp_f32_e32 v14, v13
	v_nop
	s_delay_alu instid0(TRANS32_DEP_1) | instskip(NEXT) | instid1(VALU_DEP_1)
	v_fma_f32 v17, -v13, v14, 1.0
	v_fmac_f32_e32 v14, v17, v14
	v_div_scale_f32 v17, vcc_lo, v2, v11, v2
	s_delay_alu instid0(VALU_DEP_1) | instskip(NEXT) | instid1(VALU_DEP_1)
	v_mul_f32_e32 v25, v17, v14
	v_fma_f32 v28, -v13, v25, v17
	s_delay_alu instid0(VALU_DEP_1) | instskip(NEXT) | instid1(VALU_DEP_1)
	v_fmac_f32_e32 v25, v28, v14
	v_fma_f32 v13, -v13, v25, v17
	s_delay_alu instid0(VALU_DEP_1) | instskip(NEXT) | instid1(VALU_DEP_1)
	v_div_fmas_f32 v13, v13, v14, v25
	v_div_fixup_f32 v11, v13, v11, v2
.LBB8_94:                               ;   in Loop: Header=BB8_71 Depth=2
	s_or_b32 exec_lo, exec_lo, s4
	s_delay_alu instid0(VALU_DEP_1)
	v_dual_mul_f32 v14, -0.5, v8 :: v_dual_add_f32 v17, v39, v11
	v_add_nc_u32_e32 v34, 1, v6
                                        ; implicit-def: $vgpr25
                                        ; implicit-def: $vgpr32_vgpr33
                                        ; implicit-def: $vgpr29
.LBB8_95:                               ;   in Loop: Header=BB8_71 Depth=2
	s_or_saveexec_b32 s5, s5
	v_dual_mov_b32 v13, 0 :: v_dual_mov_b32 v28, v6
	s_xor_b32 exec_lo, exec_lo, s5
	s_cbranch_execz .LBB8_101
; %bb.96:                               ;   in Loop: Header=BB8_71 Depth=2
	v_add_f32_e32 v11, v25, v32
	v_pk_mul_f32 v[24:25], v[8:9], v[32:33]
	s_delay_alu instid0(VALU_DEP_1) | instskip(NEXT) | instid1(VALU_DEP_1)
	v_dual_add_f32 v13, v11, v33 :: v_dual_mul_f32 v11, -4.0, v24
	v_mul_f32_e32 v14, v13, v13
	s_delay_alu instid0(VALU_DEP_1) | instskip(NEXT) | instid1(VALU_DEP_1)
	v_fmac_f32_e32 v14, v29, v11
	v_mul_f32_e64 v11, 0x4f800000, |v14|
	v_cmp_gt_f32_e64 vcc_lo, 0xf800000, |v14|
	s_delay_alu instid0(VALU_DEP_1) | instskip(NEXT) | instid1(VALU_DEP_1)
	v_cndmask_b32_e64 v11, |v14|, v11, vcc_lo
	v_sqrt_f32_e32 v14, v11
	v_nop
	s_delay_alu instid0(TRANS32_DEP_1) | instskip(NEXT) | instid1(VALU_DEP_1)
	v_dual_add_nc_u32 v17, -1, v14 :: v_dual_add_nc_u32 v25, 1, v14
	v_fma_f32 v28, -v17, v14, v11
	s_delay_alu instid0(VALU_DEP_1) | instskip(NEXT) | instid1(VALU_DEP_1)
	v_cmp_ge_f32_e64 s4, 0, v28
	v_dual_fma_f32 v32, -v25, v14, v11 :: v_dual_cndmask_b32 v14, v14, v17, s4
	s_delay_alu instid0(VALU_DEP_1) | instskip(NEXT) | instid1(VALU_DEP_1)
	v_cmp_lt_f32_e64 s4, 0, v32
	v_cndmask_b32_e64 v14, v14, v25, s4
	s_mov_b32 s4, exec_lo
	s_delay_alu instid0(VALU_DEP_1) | instskip(NEXT) | instid1(VALU_DEP_1)
	v_mul_f32_e32 v17, 0x37800000, v14
	v_cndmask_b32_e32 v14, v14, v17, vcc_lo
	v_cmp_class_f32_e64 vcc_lo, v11, 0x260
	s_delay_alu instid0(VALU_DEP_2)
	v_cndmask_b32_e32 v14, v14, v11, vcc_lo
                                        ; implicit-def: $vgpr11
	v_cmpx_nlt_f32_e32 0, v13
	s_xor_b32 s4, exec_lo, s4
	s_cbranch_execz .LBB8_98
; %bb.97:                               ;   in Loop: Header=BB8_71 Depth=2
	s_delay_alu instid0(VALU_DEP_2) | instskip(SKIP_1) | instid1(VALU_DEP_1)
	v_sub_f32_e32 v11, v13, v14
	v_add_f32_e32 v13, v29, v29
	v_div_scale_f32 v14, null, v13, v13, v11
	s_delay_alu instid0(VALU_DEP_1) | instskip(SKIP_1) | instid1(TRANS32_DEP_1)
	v_rcp_f32_e32 v17, v14
	v_nop
	v_fma_f32 v24, -v14, v17, 1.0
	s_delay_alu instid0(VALU_DEP_1) | instskip(SKIP_1) | instid1(VALU_DEP_1)
	v_fmac_f32_e32 v17, v24, v17
	v_div_scale_f32 v24, vcc_lo, v11, v13, v11
	v_mul_f32_e32 v25, v24, v17
	s_delay_alu instid0(VALU_DEP_1) | instskip(NEXT) | instid1(VALU_DEP_1)
	v_fma_f32 v28, -v14, v25, v24
	v_fmac_f32_e32 v25, v28, v17
	s_delay_alu instid0(VALU_DEP_1) | instskip(NEXT) | instid1(VALU_DEP_1)
	v_fma_f32 v14, -v14, v25, v24
	v_div_fmas_f32 v14, v14, v17, v25
                                        ; implicit-def: $vgpr24_vgpr25
	s_delay_alu instid0(VALU_DEP_1)
	v_div_fixup_f32 v11, v14, v13, v11
                                        ; implicit-def: $vgpr13
                                        ; implicit-def: $vgpr14
.LBB8_98:                               ;   in Loop: Header=BB8_71 Depth=2
	s_and_not1_saveexec_b32 s4, s4
	s_cbranch_execz .LBB8_100
; %bb.99:                               ;   in Loop: Header=BB8_71 Depth=2
	v_dual_add_f32 v11, v24, v24 :: v_dual_add_f32 v13, v13, v14
	s_delay_alu instid0(VALU_DEP_1) | instskip(NEXT) | instid1(VALU_DEP_1)
	v_div_scale_f32 v14, null, v13, v13, v11
	v_rcp_f32_e32 v17, v14
	v_nop
	s_delay_alu instid0(TRANS32_DEP_1) | instskip(NEXT) | instid1(VALU_DEP_1)
	v_fma_f32 v24, -v14, v17, 1.0
	v_fmac_f32_e32 v17, v24, v17
	v_div_scale_f32 v24, vcc_lo, v11, v13, v11
	s_delay_alu instid0(VALU_DEP_1) | instskip(NEXT) | instid1(VALU_DEP_1)
	v_mul_f32_e32 v25, v24, v17
	v_fma_f32 v28, -v14, v25, v24
	s_delay_alu instid0(VALU_DEP_1) | instskip(NEXT) | instid1(VALU_DEP_1)
	v_fmac_f32_e32 v25, v28, v17
	v_fma_f32 v14, -v14, v25, v24
	s_delay_alu instid0(VALU_DEP_1) | instskip(NEXT) | instid1(VALU_DEP_1)
	v_div_fmas_f32 v14, v14, v17, v25
	v_div_fixup_f32 v11, v14, v13, v11
.LBB8_100:                              ;   in Loop: Header=BB8_71 Depth=2
	s_or_b32 exec_lo, exec_lo, s4
	s_delay_alu instid0(VALU_DEP_1)
	v_dual_mul_f32 v13, 0.5, v8 :: v_dual_add_f32 v17, v38, v11
	v_dual_mov_b32 v14, 0 :: v_dual_mov_b32 v28, v2
	v_dual_mov_b32 v24, v38 :: v_dual_mov_b32 v34, v6
.LBB8_101:                              ;   in Loop: Header=BB8_71 Depth=2
	s_or_b32 exec_lo, exec_lo, s5
	v_mov_b32_e32 v2, 0
	s_mov_b32 s5, -1
	s_mov_b32 s4, exec_lo
	v_cmpx_lt_u32_e32 1, v34
	s_cbranch_execz .LBB8_105
; %bb.102:                              ;   in Loop: Header=BB8_71 Depth=2
	v_dual_mov_b32 v25, v24 :: v_dual_bitop2_b32 v2, -2, v34 bitop3:0x40
	v_mov_b64_e32 v[32:33], v[20:21]
	s_mov_b32 s5, 0
	s_delay_alu instid0(VALU_DEP_2)
	v_mov_b32_e32 v6, v2
.LBB8_103:                              ;   Parent Loop BB8_4 Depth=1
                                        ;     Parent Loop BB8_71 Depth=2
                                        ; =>    This Inner Loop Header: Depth=3
	global_load_b64 v[40:41], v[32:33], off
	v_add_nc_u32_e32 v6, -2, v6
	s_delay_alu instid0(VALU_DEP_1)
	v_cmp_eq_u32_e32 vcc_lo, 0, v6
	s_or_b32 s5, vcc_lo, s5
	s_wait_loadcnt 0x0
	v_pk_add_f32 v[40:41], v[40:41], v[24:25] neg_lo:[0,1] neg_hi:[0,1]
	global_store_b64 v[32:33], v[40:41], off
	s_wait_xcnt 0x0
	v_add_nc_u64_e32 v[32:33], 8, v[32:33]
	s_and_not1_b32 exec_lo, exec_lo, s5
	s_cbranch_execnz .LBB8_103
; %bb.104:                              ;   in Loop: Header=BB8_71 Depth=2
	s_or_b32 exec_lo, exec_lo, s5
	v_cmp_ne_u32_e32 vcc_lo, v34, v2
	s_or_not1_b32 s5, vcc_lo, exec_lo
.LBB8_105:                              ;   in Loop: Header=BB8_71 Depth=2
	s_or_b32 exec_lo, exec_lo, s4
	s_and_saveexec_b32 s4, s5
	s_cbranch_execz .LBB8_108
; %bb.106:                              ;   in Loop: Header=BB8_71 Depth=2
	v_lshl_add_u64 v[32:33], v[2:3], 2, v[30:31]
	v_sub_nc_u32_e32 v2, v28, v2
	s_mov_b32 s5, 0
	s_delay_alu instid0(VALU_DEP_2) | instskip(NEXT) | instid1(VALU_DEP_2)
	v_add_nc_u64_e32 v[32:33], s[60:61], v[32:33]
	v_add_nc_u32_e32 v2, 1, v2
.LBB8_107:                              ;   Parent Loop BB8_4 Depth=1
                                        ;     Parent Loop BB8_71 Depth=2
                                        ; =>    This Inner Loop Header: Depth=3
	global_load_b32 v6, v[32:33], off
	s_wait_loadcnt 0x0
	v_dual_add_nc_u32 v2, -1, v2 :: v_dual_sub_f32 v6, v6, v24
	s_delay_alu instid0(VALU_DEP_1) | instskip(SKIP_4) | instid1(SALU_CYCLE_1)
	v_cmp_eq_u32_e32 vcc_lo, 0, v2
	global_store_b32 v[32:33], v6, off
	s_wait_xcnt 0x0
	v_add_nc_u64_e32 v[32:33], 4, v[32:33]
	s_or_b32 s5, vcc_lo, s5
	s_and_not1_b32 exec_lo, exec_lo, s5
	s_cbranch_execnz .LBB8_107
.LBB8_108:                              ;   in Loop: Header=BB8_71 Depth=2
	s_or_b32 exec_lo, exec_lo, s4
	v_cmp_gt_i32_e64 s4, s70, v28
	s_and_saveexec_b32 s5, s4
	s_cbranch_execz .LBB8_118
; %bb.109:                              ;   in Loop: Header=BB8_71 Depth=2
	v_min_u32_e32 v25, s72, v28
	v_mov_b32_e32 v2, s70
	s_mov_b32 s7, exec_lo
	s_delay_alu instid0(VALU_DEP_2) | instskip(NEXT) | instid1(VALU_DEP_1)
	v_xad_u32 v6, v25, -1, s99
	v_cmp_gt_u32_e64 s6, 4, v6
	v_cmpx_lt_u32_e32 3, v6
	s_cbranch_execz .LBB8_115
; %bb.110:                              ;   in Loop: Header=BB8_71 Depth=2
	v_subrev_nc_u32_e32 v2, s72, v25
	s_mov_b32 s18, -1
	s_delay_alu instid0(VALU_DEP_1) | instskip(NEXT) | instid1(VALU_DEP_1)
	v_add_nc_u32_e32 v2, s70, v2
	v_cmp_ge_u32_e32 vcc_lo, s70, v2
	v_mov_b32_e32 v2, s70
	s_and_saveexec_b32 s36, vcc_lo
	s_cbranch_execz .LBB8_114
; %bb.111:                              ;   in Loop: Header=BB8_71 Depth=2
	v_dual_mov_b32 v25, v24 :: v_dual_bitop2_b32 v2, -2, v6 bitop3:0x40
	s_mov_b32 s37, 0
	s_mov_b32 s18, s70
	s_delay_alu instid0(VALU_DEP_1)
	v_mov_b32_e32 v29, v2
.LBB8_112:                              ;   Parent Loop BB8_4 Depth=1
                                        ;     Parent Loop BB8_71 Depth=2
                                        ; =>    This Inner Loop Header: Depth=3
	v_lshl_add_u64 v[32:33], s[18:19], 2, v[36:37]
	s_delay_alu instid0(VALU_DEP_2)
	v_add_nc_u32_e32 v29, -2, v29
	s_add_co_i32 s18, s18, -2
	global_load_b64 v[34:35], v[32:33], off offset:-4
	v_cmp_eq_u32_e32 vcc_lo, 0, v29
	s_or_b32 s37, vcc_lo, s37
	s_wait_loadcnt 0x0
	v_pk_add_f32 v[34:35], v[34:35], v[24:25] neg_lo:[0,1] neg_hi:[0,1]
	global_store_b64 v[32:33], v[34:35], off offset:-4
	s_wait_xcnt 0x0
	s_and_not1_b32 exec_lo, exec_lo, s37
	s_cbranch_execnz .LBB8_112
; %bb.113:                              ;   in Loop: Header=BB8_71 Depth=2
	s_or_b32 exec_lo, exec_lo, s37
	v_cmp_ne_u32_e32 vcc_lo, v6, v2
	v_sub_nc_u32_e32 v2, s70, v2
	s_or_not1_b32 s18, vcc_lo, exec_lo
.LBB8_114:                              ;   in Loop: Header=BB8_71 Depth=2
	s_or_b32 exec_lo, exec_lo, s36
	s_delay_alu instid0(SALU_CYCLE_1) | instskip(SKIP_1) | instid1(SALU_CYCLE_1)
	s_and_not1_b32 s6, s6, exec_lo
	s_and_b32 s18, s18, exec_lo
	s_or_b32 s6, s6, s18
.LBB8_115:                              ;   in Loop: Header=BB8_71 Depth=2
	s_or_b32 exec_lo, exec_lo, s7
	s_delay_alu instid0(SALU_CYCLE_1)
	s_and_b32 exec_lo, exec_lo, s6
	s_cbranch_execz .LBB8_118
; %bb.116:                              ;   in Loop: Header=BB8_71 Depth=2
	s_mov_b32 s6, 0
.LBB8_117:                              ;   Parent Loop BB8_4 Depth=1
                                        ;     Parent Loop BB8_71 Depth=2
                                        ; =>    This Inner Loop Header: Depth=3
	v_lshl_add_u64 v[32:33], v[2:3], 2, v[36:37]
	global_load_b32 v6, v[32:33], off
	s_wait_loadcnt 0x0
	v_dual_add_nc_u32 v2, -1, v2 :: v_dual_sub_f32 v6, v6, v24
	s_delay_alu instid0(VALU_DEP_1)
	v_cmp_le_u32_e32 vcc_lo, v2, v28
	global_store_b32 v[32:33], v6, off
	s_or_b32 s6, vcc_lo, s6
	s_wait_xcnt 0x0
	s_and_not1_b32 exec_lo, exec_lo, s6
	s_cbranch_execnz .LBB8_117
.LBB8_118:                              ;   in Loop: Header=BB8_71 Depth=2
	s_or_b32 exec_lo, exec_lo, s5
	v_dual_mov_b32 v29, v3 :: v_dual_mov_b32 v41, 0
	v_cmp_ne_u32_e64 s5, 0, v28
	s_delay_alu instid0(VALU_DEP_2) | instskip(NEXT) | instid1(VALU_DEP_3)
	v_lshl_add_u64 v[32:33], v[28:29], 2, v[36:37]
	v_mov_b32_e32 v40, v41
	global_load_b32 v2, v[32:33], off
	s_wait_loadcnt 0x0
	v_dual_sub_f32 v6, v2, v11 :: v_dual_mov_b32 v2, v41
	global_store_b32 v[32:33], v6, off
	s_wait_xcnt 0x0
	s_and_saveexec_b32 s18, s5
	s_cbranch_execz .LBB8_122
; %bb.119:                              ;   in Loop: Header=BB8_71 Depth=2
	v_dual_mov_b32 v2, 0 :: v_dual_mov_b32 v6, v28
	v_mov_b64_e32 v[34:35], v[20:21]
	v_mov_b32_e32 v40, 0
	s_mov_b32 s36, 0
	s_delay_alu instid0(VALU_DEP_3)
	v_mov_b32_e32 v41, v2
	s_mov_b64 s[6:7], s[62:63]
.LBB8_120:                              ;   Parent Loop BB8_4 Depth=1
                                        ;     Parent Loop BB8_71 Depth=2
                                        ; =>    This Inner Loop Header: Depth=3
	global_load_b32 v25, v[34:35], off
	s_wait_loadcnt 0x0
	v_dual_sub_f32 v25, v25, v11 :: v_dual_add_nc_u32 v6, -1, v6
	global_store_b32 v[34:35], v25, off
	global_load_b32 v43, v3, s[6:7]
	s_wait_xcnt 0x1
	v_add_nc_u64_e32 v[34:35], 4, v[34:35]
	s_wait_xcnt 0x0
	s_add_nc_u64 s[6:7], s[6:7], 4
	s_wait_loadcnt 0x0
	v_div_scale_f32 v42, null, v25, v25, v43
	v_div_scale_f32 v46, vcc_lo, v43, v25, v43
	s_delay_alu instid0(VALU_DEP_2) | instskip(SKIP_1) | instid1(TRANS32_DEP_1)
	v_rcp_f32_e32 v44, v42
	v_nop
	v_fma_f32 v45, -v42, v44, 1.0
	s_delay_alu instid0(VALU_DEP_1) | instskip(NEXT) | instid1(VALU_DEP_1)
	v_fmac_f32_e32 v44, v45, v44
	v_mul_f32_e32 v45, v46, v44
	s_delay_alu instid0(VALU_DEP_1) | instskip(NEXT) | instid1(VALU_DEP_1)
	v_fma_f32 v47, -v42, v45, v46
	v_fmac_f32_e32 v45, v47, v44
	s_delay_alu instid0(VALU_DEP_1) | instskip(NEXT) | instid1(VALU_DEP_1)
	v_fma_f32 v42, -v42, v45, v46
	v_div_fmas_f32 v42, v42, v44, v45
	v_cmp_eq_u32_e32 vcc_lo, 0, v6
	s_delay_alu instid0(VALU_DEP_2) | instskip(SKIP_1) | instid1(VALU_DEP_1)
	v_div_fixup_f32 v42, v42, v25, v43
	s_or_b32 s36, vcc_lo, s36
	v_pk_fma_f32 v[40:41], v[42:43], v[42:43], v[40:41] op_sel_hi:[1,0,1]
	s_delay_alu instid0(VALU_DEP_1)
	v_add_f32_e32 v2, v2, v41
	s_and_not1_b32 exec_lo, exec_lo, s36
	s_cbranch_execnz .LBB8_120
; %bb.121:                              ;   in Loop: Header=BB8_71 Depth=2
	s_or_b32 exec_lo, exec_lo, s36
	s_delay_alu instid0(VALU_DEP_1)
	v_and_b32_e32 v2, 0x7fffffff, v2
.LBB8_122:                              ;   in Loop: Header=BB8_71 Depth=2
	s_or_b32 exec_lo, exec_lo, s18
	v_mov_b32_e32 v45, 0
	s_delay_alu instid0(VALU_DEP_1)
	v_mov_b32_e32 v44, v45
	s_and_saveexec_b32 s6, s4
	s_cbranch_execz .LBB8_126
; %bb.123:                              ;   in Loop: Header=BB8_71 Depth=2
	v_mov_b32_e32 v44, 0
	s_mov_b32 s7, 0
	s_mov_b32 s18, s70
	s_delay_alu instid0(VALU_DEP_1)
	v_mov_b32_e32 v45, v44
.LBB8_124:                              ;   Parent Loop BB8_4 Depth=1
                                        ;     Parent Loop BB8_71 Depth=2
                                        ; =>    This Inner Loop Header: Depth=3
	v_lshl_add_u64 v[34:35], s[18:19], 2, v[36:37]
	v_mov_b32_e32 v25, s18
	s_add_co_i32 s18, s18, -1
	global_load_b32 v6, v[34:35], off
	s_wait_loadcnt 0x0
	v_sub_f32_e32 v6, v6, v11
	global_store_b32 v[34:35], v6, off
	global_load_b32 v35, v25, s[62:63] scale_offset
	s_wait_loadcnt 0x0
	v_div_scale_f32 v25, null, v6, v6, v35
	v_div_scale_f32 v43, vcc_lo, v35, v6, v35
	s_delay_alu instid0(VALU_DEP_2) | instskip(SKIP_1) | instid1(TRANS32_DEP_1)
	v_rcp_f32_e32 v34, v25
	v_nop
	v_fma_f32 v42, -v25, v34, 1.0
	s_delay_alu instid0(VALU_DEP_1) | instskip(NEXT) | instid1(VALU_DEP_1)
	v_fmac_f32_e32 v34, v42, v34
	v_mul_f32_e32 v42, v43, v34
	s_delay_alu instid0(VALU_DEP_1) | instskip(NEXT) | instid1(VALU_DEP_1)
	v_fma_f32 v46, -v25, v42, v43
	v_fmac_f32_e32 v42, v46, v34
	s_delay_alu instid0(VALU_DEP_1) | instskip(NEXT) | instid1(VALU_DEP_1)
	v_fma_f32 v25, -v25, v42, v43
	v_div_fmas_f32 v25, v25, v34, v42
	v_cmp_le_u32_e32 vcc_lo, s18, v28
	s_delay_alu instid0(VALU_DEP_2) | instskip(SKIP_1) | instid1(VALU_DEP_1)
	v_div_fixup_f32 v34, v25, v6, v35
	s_or_b32 s7, vcc_lo, s7
	v_pk_fma_f32 v[44:45], v[34:35], v[34:35], v[44:45] op_sel_hi:[1,0,1]
	s_delay_alu instid0(VALU_DEP_1)
	v_add_f32_e32 v2, v2, v45
	s_and_not1_b32 exec_lo, exec_lo, s7
	s_cbranch_execnz .LBB8_124
; %bb.125:                              ;   in Loop: Header=BB8_71 Depth=2
	s_or_b32 exec_lo, exec_lo, s7
.LBB8_126:                              ;   in Loop: Header=BB8_71 Depth=2
	s_delay_alu instid0(SALU_CYCLE_1)
	s_or_b32 exec_lo, exec_lo, s6
	v_lshl_add_u64 v[34:35], v[28:29], 2, s[62:63]
	s_mov_b32 s46, exec_lo
	global_load_b32 v25, v[32:33], off
	global_load_b32 v29, v[34:35], off
	s_wait_loadcnt 0x0
	v_div_scale_f32 v6, null, v25, v25, v29
	v_div_scale_f32 v46, vcc_lo, v29, v25, v29
	s_delay_alu instid0(VALU_DEP_2) | instskip(SKIP_1) | instid1(TRANS32_DEP_1)
	v_rcp_f32_e32 v42, v6
	v_nop
	v_fma_f32 v43, -v6, v42, 1.0
	s_delay_alu instid0(VALU_DEP_1) | instskip(NEXT) | instid1(VALU_DEP_1)
	v_fmac_f32_e32 v42, v43, v42
	v_mul_f32_e32 v43, v46, v42
	s_delay_alu instid0(VALU_DEP_1) | instskip(NEXT) | instid1(VALU_DEP_1)
	v_fma_f32 v47, -v6, v43, v46
	v_dual_fmac_f32 v43, v47, v42 :: v_dual_sub_f32 v47, v45, v41
	s_delay_alu instid0(VALU_DEP_1) | instskip(NEXT) | instid1(VALU_DEP_1)
	v_fma_f32 v6, -v6, v43, v46
	v_div_fmas_f32 v6, v6, v42, v43
	v_dual_add_f32 v42, v12, v41 :: v_dual_mov_b32 v41, v57
	s_delay_alu instid0(VALU_DEP_2) | instskip(NEXT) | instid1(VALU_DEP_2)
	v_div_fixup_f32 v46, v6, v25, v29
	v_add_f32_e32 v43, v42, v45
	s_delay_alu instid0(VALU_DEP_2) | instskip(NEXT) | instid1(VALU_DEP_2)
	v_dual_mul_f32 v45, 0x41000000, v47 :: v_dual_mul_f32 v6, v29, v46
	v_fmac_f32_e32 v43, v29, v46
	s_delay_alu instid0(VALU_DEP_2) | instskip(SKIP_1) | instid1(VALU_DEP_4)
	v_and_b32_e32 v47, 0x7fffffff, v6
	v_mov_b32_e32 v6, v46
	v_pk_add_f32 v[44:45], v[40:41], v[44:45]
	s_delay_alu instid0(VALU_DEP_1) | instskip(NEXT) | instid1(VALU_DEP_1)
	v_pk_fma_f32 v[40:41], v[46:47], v[6:7], v[44:45]
	v_fma_f32 v6, |v11|, v40, v41
	s_delay_alu instid0(VALU_DEP_1) | instskip(NEXT) | instid1(VALU_DEP_1)
	v_add_f32_e32 v2, v2, v6
	v_mul_f32_e32 v2, s82, v2
	s_wait_xcnt 0x0
	s_delay_alu instid0(VALU_DEP_1)
	v_cmpx_nle_f32_e64 |v43|, v2
	s_cbranch_execz .LBB8_208
; %bb.127:                              ;   in Loop: Header=BB8_71 Depth=2
	global_load_b64 v[46:47], v[22:23], off
                                        ; implicit-def: $vgpr17
	s_wait_xcnt 0x0
	s_and_saveexec_b32 s6, s3
	s_delay_alu instid0(SALU_CYCLE_1)
	s_xor_b32 s6, exec_lo, s6
	s_cbranch_execz .LBB8_129
; %bb.128:                              ;   in Loop: Header=BB8_71 Depth=2
	global_load_b32 v2, v[26:27], off offset:4
	s_wait_loadcnt 0x0
	v_mul_f32_e32 v6, v8, v2
	s_delay_alu instid0(VALU_DEP_1) | instskip(NEXT) | instid1(VALU_DEP_1)
	v_mul_f32_e32 v2, v2, v6
	v_div_scale_f32 v6, null, v47, v47, v2
	v_div_scale_f32 v42, vcc_lo, v2, v47, v2
	s_delay_alu instid0(VALU_DEP_2) | instskip(SKIP_1) | instid1(TRANS32_DEP_1)
	v_rcp_f32_e32 v17, v6
	v_nop
	v_fma_f32 v29, -v6, v17, 1.0
	s_delay_alu instid0(VALU_DEP_1) | instskip(NEXT) | instid1(VALU_DEP_1)
	v_fmac_f32_e32 v17, v29, v17
	v_mul_f32_e32 v29, v42, v17
	s_delay_alu instid0(VALU_DEP_1) | instskip(NEXT) | instid1(VALU_DEP_1)
	v_fma_f32 v45, -v6, v29, v42
	v_fmac_f32_e32 v29, v45, v17
	s_delay_alu instid0(VALU_DEP_1) | instskip(NEXT) | instid1(VALU_DEP_1)
	v_fma_f32 v6, -v6, v29, v42
	v_div_fmas_f32 v6, v6, v17, v29
	s_delay_alu instid0(VALU_DEP_1) | instskip(NEXT) | instid1(VALU_DEP_1)
	v_div_fixup_f32 v2, v6, v47, v2
	v_div_scale_f32 v6, null, v47, v47, v2
	s_delay_alu instid0(VALU_DEP_1) | instskip(SKIP_1) | instid1(TRANS32_DEP_1)
	v_rcp_f32_e32 v17, v6
	v_nop
	v_fma_f32 v29, -v6, v17, 1.0
	s_delay_alu instid0(VALU_DEP_1) | instskip(SKIP_1) | instid1(VALU_DEP_1)
	v_fmac_f32_e32 v17, v29, v17
	v_div_scale_f32 v29, vcc_lo, v2, v47, v2
	v_mul_f32_e32 v42, v29, v17
	s_delay_alu instid0(VALU_DEP_1) | instskip(NEXT) | instid1(VALU_DEP_1)
	v_fma_f32 v45, -v6, v42, v29
	v_fmac_f32_e32 v42, v45, v17
	s_delay_alu instid0(VALU_DEP_1) | instskip(NEXT) | instid1(VALU_DEP_1)
	v_fma_f32 v6, -v6, v42, v29
	v_div_fmas_f32 v6, v6, v17, v42
	v_fma_f32 v17, -v40, v46, v43
	s_delay_alu instid0(VALU_DEP_2) | instskip(NEXT) | instid1(VALU_DEP_1)
	v_div_fixup_f32 v2, v6, v47, v2
	v_sub_f32_e32 v17, v17, v2
.LBB8_129:                              ;   in Loop: Header=BB8_71 Depth=2
	s_wait_xcnt 0x0
	s_or_saveexec_b32 s6, s6
	v_sub_f32_e32 v2, v38, v39
	s_xor_b32 exec_lo, exec_lo, s6
	s_cbranch_execz .LBB8_131
; %bb.130:                              ;   in Loop: Header=BB8_71 Depth=2
	global_load_b32 v6, v[26:27], off
	s_wait_loadcnt 0x0
	v_mul_f32_e32 v17, v2, v6
	s_delay_alu instid0(VALU_DEP_1) | instskip(NEXT) | instid1(VALU_DEP_1)
	v_mul_f32_e32 v6, v6, v17
	v_div_scale_f32 v17, null, v46, v46, v6
	v_div_scale_f32 v39, vcc_lo, v6, v46, v6
	s_delay_alu instid0(VALU_DEP_2) | instskip(SKIP_1) | instid1(TRANS32_DEP_1)
	v_rcp_f32_e32 v29, v17
	v_nop
	v_fma_f32 v38, -v17, v29, 1.0
	s_delay_alu instid0(VALU_DEP_1) | instskip(NEXT) | instid1(VALU_DEP_1)
	v_fmac_f32_e32 v29, v38, v29
	v_mul_f32_e32 v38, v39, v29
	s_delay_alu instid0(VALU_DEP_1) | instskip(NEXT) | instid1(VALU_DEP_1)
	v_fma_f32 v42, -v17, v38, v39
	v_fmac_f32_e32 v38, v42, v29
	s_delay_alu instid0(VALU_DEP_1) | instskip(NEXT) | instid1(VALU_DEP_1)
	v_fma_f32 v17, -v17, v38, v39
	v_div_fmas_f32 v17, v17, v29, v38
	s_delay_alu instid0(VALU_DEP_1) | instskip(NEXT) | instid1(VALU_DEP_1)
	v_div_fixup_f32 v6, v17, v46, v6
	v_div_scale_f32 v17, null, v46, v46, v6
	s_delay_alu instid0(VALU_DEP_1) | instskip(SKIP_1) | instid1(TRANS32_DEP_1)
	v_rcp_f32_e32 v29, v17
	v_nop
	v_fma_f32 v38, -v17, v29, 1.0
	s_delay_alu instid0(VALU_DEP_1) | instskip(SKIP_1) | instid1(VALU_DEP_1)
	v_fmac_f32_e32 v29, v38, v29
	v_div_scale_f32 v38, vcc_lo, v6, v46, v6
	v_mul_f32_e32 v39, v38, v29
	s_delay_alu instid0(VALU_DEP_1) | instskip(NEXT) | instid1(VALU_DEP_1)
	v_fma_f32 v42, -v17, v39, v38
	v_fmac_f32_e32 v39, v42, v29
	s_delay_alu instid0(VALU_DEP_1) | instskip(NEXT) | instid1(VALU_DEP_1)
	v_fma_f32 v17, -v17, v39, v38
	v_div_fmas_f32 v17, v17, v29, v39
	v_fma_f32 v29, -v40, v47, v43
	s_delay_alu instid0(VALU_DEP_2) | instskip(NEXT) | instid1(VALU_DEP_1)
	v_div_fixup_f32 v6, v17, v46, v6
	v_sub_f32_e32 v17, v29, v6
.LBB8_131:                              ;   in Loop: Header=BB8_71 Depth=2
	s_wait_xcnt 0x0
	s_or_b32 exec_lo, exec_lo, s6
	s_wait_loadcnt 0x0
	v_dual_add_f32 v49, v46, v47 :: v_dual_mov_b32 v42, v46
	v_dual_mov_b32 v48, v47 :: v_dual_mov_b32 v60, v43
                                        ; implicit-def: $vgpr6
	s_mov_b32 s6, exec_lo
	s_delay_alu instid0(VALU_DEP_1) | instskip(NEXT) | instid1(VALU_DEP_1)
	v_pk_mul_f32 v[38:39], v[42:43], v[48:49]
	v_pk_mul_f32 v[58:59], v[40:41], v[38:39]
	s_delay_alu instid0(VALU_DEP_1) | instskip(NEXT) | instid1(VALU_DEP_1)
	v_mov_b32_e32 v61, v58
	v_pk_mul_f32 v[38:39], v[38:39], v[60:61]
	v_pk_fma_f32 v[48:49], v[42:43], v[48:49], v[60:61] neg_lo:[0,0,1] neg_hi:[0,0,1]
	v_cmpx_neq_f32_e32 0, v17
	s_xor_b32 s7, exec_lo, s6
	s_cbranch_execz .LBB8_137
; %bb.132:                              ;   in Loop: Header=BB8_71 Depth=2
	s_delay_alu instid0(VALU_DEP_2) | instskip(NEXT) | instid1(VALU_DEP_1)
	v_dual_mul_f32 v6, v49, v49 :: v_dual_mul_f32 v29, -4.0, v38
	v_fmac_f32_e32 v6, v29, v17
	s_delay_alu instid0(VALU_DEP_1) | instskip(SKIP_1) | instid1(VALU_DEP_1)
	v_mul_f32_e64 v29, 0x4f800000, |v6|
	v_cmp_gt_f32_e64 vcc_lo, 0xf800000, |v6|
	v_cndmask_b32_e64 v6, |v6|, v29, vcc_lo
	s_delay_alu instid0(VALU_DEP_1) | instskip(SKIP_1) | instid1(TRANS32_DEP_1)
	v_sqrt_f32_e32 v29, v6
	v_nop
	v_dual_add_nc_u32 v39, -1, v29 :: v_dual_add_nc_u32 v41, 1, v29
	s_delay_alu instid0(VALU_DEP_1) | instskip(NEXT) | instid1(VALU_DEP_1)
	v_dual_fma_f32 v42, -v39, v29, v6 :: v_dual_fma_f32 v44, -v41, v29, v6
	v_cmp_ge_f32_e64 s6, 0, v42
	s_delay_alu instid0(VALU_DEP_1) | instskip(NEXT) | instid1(VALU_DEP_3)
	v_cndmask_b32_e64 v29, v29, v39, s6
	v_cmp_lt_f32_e64 s6, 0, v44
	s_delay_alu instid0(VALU_DEP_1) | instskip(SKIP_1) | instid1(VALU_DEP_1)
	v_cndmask_b32_e64 v29, v29, v41, s6
	s_mov_b32 s6, exec_lo
	v_mul_f32_e32 v39, 0x37800000, v29
	s_delay_alu instid0(VALU_DEP_1) | instskip(SKIP_1) | instid1(VALU_DEP_2)
	v_cndmask_b32_e32 v29, v29, v39, vcc_lo
	v_cmp_class_f32_e64 vcc_lo, v6, 0x260
	v_cndmask_b32_e32 v29, v29, v6, vcc_lo
                                        ; implicit-def: $vgpr6
	v_cmpx_ge_f32_e32 0, v49
	s_xor_b32 s6, exec_lo, s6
	s_cbranch_execz .LBB8_134
; %bb.133:                              ;   in Loop: Header=BB8_71 Depth=2
	s_delay_alu instid0(VALU_DEP_2) | instskip(SKIP_1) | instid1(VALU_DEP_1)
	v_sub_f32_e32 v6, v49, v29
	v_add_f32_e32 v17, v17, v17
                                        ; implicit-def: $vgpr48_vgpr49
	v_div_scale_f32 v29, null, v17, v17, v6
	s_delay_alu instid0(VALU_DEP_1) | instskip(SKIP_1) | instid1(TRANS32_DEP_1)
	v_rcp_f32_e32 v38, v29
	v_nop
	v_fma_f32 v39, -v29, v38, 1.0
	s_delay_alu instid0(VALU_DEP_1) | instskip(SKIP_1) | instid1(VALU_DEP_1)
	v_fmac_f32_e32 v38, v39, v38
	v_div_scale_f32 v39, vcc_lo, v6, v17, v6
	v_mul_f32_e32 v41, v39, v38
	s_delay_alu instid0(VALU_DEP_1) | instskip(NEXT) | instid1(VALU_DEP_1)
	v_fma_f32 v42, -v29, v41, v39
	v_fmac_f32_e32 v41, v42, v38
	s_delay_alu instid0(VALU_DEP_1) | instskip(NEXT) | instid1(VALU_DEP_1)
	v_fma_f32 v29, -v29, v41, v39
	v_div_fmas_f32 v29, v29, v38, v41
                                        ; implicit-def: $vgpr38_vgpr39
	s_delay_alu instid0(VALU_DEP_1)
	v_div_fixup_f32 v6, v29, v17, v6
                                        ; implicit-def: $vgpr29
.LBB8_134:                              ;   in Loop: Header=BB8_71 Depth=2
	s_and_not1_saveexec_b32 s6, s6
	s_cbranch_execz .LBB8_136
; %bb.135:                              ;   in Loop: Header=BB8_71 Depth=2
	v_dual_add_f32 v6, v38, v38 :: v_dual_add_f32 v17, v49, v29
	s_delay_alu instid0(VALU_DEP_1) | instskip(NEXT) | instid1(VALU_DEP_1)
	v_div_scale_f32 v29, null, v17, v17, v6
	v_rcp_f32_e32 v38, v29
	v_nop
	s_delay_alu instid0(TRANS32_DEP_1) | instskip(NEXT) | instid1(VALU_DEP_1)
	v_fma_f32 v39, -v29, v38, 1.0
	v_fmac_f32_e32 v38, v39, v38
	v_div_scale_f32 v39, vcc_lo, v6, v17, v6
	s_delay_alu instid0(VALU_DEP_1) | instskip(NEXT) | instid1(VALU_DEP_1)
	v_mul_f32_e32 v41, v39, v38
	v_fma_f32 v42, -v29, v41, v39
	s_delay_alu instid0(VALU_DEP_1) | instskip(NEXT) | instid1(VALU_DEP_1)
	v_fmac_f32_e32 v41, v42, v38
	v_fma_f32 v29, -v29, v41, v39
	s_delay_alu instid0(VALU_DEP_1) | instskip(NEXT) | instid1(VALU_DEP_1)
	v_div_fmas_f32 v29, v29, v38, v41
	v_div_fixup_f32 v6, v29, v17, v6
.LBB8_136:                              ;   in Loop: Header=BB8_71 Depth=2
	s_or_b32 exec_lo, exec_lo, s6
                                        ; implicit-def: $vgpr49
                                        ; implicit-def: $vgpr38_vgpr39
                                        ; implicit-def: $vgpr46_vgpr47
                                        ; implicit-def: $vgpr44_vgpr45
.LBB8_137:                              ;   in Loop: Header=BB8_71 Depth=2
	s_and_not1_saveexec_b32 s6, s7
	s_cbranch_execz .LBB8_145
; %bb.138:                              ;   in Loop: Header=BB8_71 Depth=2
	s_mov_b32 s7, exec_lo
	v_cmpx_eq_f32_e32 0, v49
	s_cbranch_execz .LBB8_144
; %bb.139:                              ;   in Loop: Header=BB8_71 Depth=2
                                        ; implicit-def: $vgpr49
	s_and_saveexec_b32 s18, s3
	s_delay_alu instid0(SALU_CYCLE_1)
	s_xor_b32 s18, exec_lo, s18
	s_cbranch_execz .LBB8_141
; %bb.140:                              ;   in Loop: Header=BB8_71 Depth=2
	global_load_b32 v45, v[26:27], off offset:4
	s_wait_loadcnt 0x0
	v_dual_mul_f32 v46, v46, v46 :: v_dual_mov_b32 v47, v45
	s_delay_alu instid0(VALU_DEP_1) | instskip(NEXT) | instid1(VALU_DEP_1)
	v_pk_mul_f32 v[44:45], v[44:45], v[46:47]
                                        ; implicit-def: $vgpr46_vgpr47
	v_add_f32_e32 v49, v44, v45
                                        ; implicit-def: $vgpr44_vgpr45
.LBB8_141:                              ;   in Loop: Header=BB8_71 Depth=2
	s_wait_xcnt 0x0
	s_and_not1_saveexec_b32 s18, s18
	s_cbranch_execz .LBB8_143
; %bb.142:                              ;   in Loop: Header=BB8_71 Depth=2
	global_load_b32 v45, v[26:27], off
	s_wait_loadcnt 0x0
	v_dual_mul_f32 v46, v47, v47 :: v_dual_mov_b32 v47, v45
	s_delay_alu instid0(VALU_DEP_1) | instskip(NEXT) | instid1(VALU_DEP_1)
	v_pk_mul_f32 v[44:45], v[44:45], v[46:47]
	v_add_f32_e32 v49, v44, v45
.LBB8_143:                              ;   in Loop: Header=BB8_71 Depth=2
	s_wait_xcnt 0x0
	s_or_b32 exec_lo, exec_lo, s18
.LBB8_144:                              ;   in Loop: Header=BB8_71 Depth=2
	s_delay_alu instid0(SALU_CYCLE_1) | instskip(NEXT) | instid1(VALU_DEP_1)
	s_or_b32 exec_lo, exec_lo, s7
	v_div_scale_f32 v6, null, v49, v49, v38
	s_delay_alu instid0(VALU_DEP_1) | instskip(SKIP_1) | instid1(TRANS32_DEP_1)
	v_rcp_f32_e32 v17, v6
	v_nop
	v_fma_f32 v29, -v6, v17, 1.0
	s_delay_alu instid0(VALU_DEP_1) | instskip(SKIP_1) | instid1(VALU_DEP_1)
	v_fmac_f32_e32 v17, v29, v17
	v_div_scale_f32 v29, vcc_lo, v38, v49, v38
	v_mul_f32_e32 v39, v29, v17
	s_delay_alu instid0(VALU_DEP_1) | instskip(NEXT) | instid1(VALU_DEP_1)
	v_fma_f32 v41, -v6, v39, v29
	v_fmac_f32_e32 v39, v41, v17
	s_delay_alu instid0(VALU_DEP_1) | instskip(NEXT) | instid1(VALU_DEP_1)
	v_fma_f32 v6, -v6, v39, v29
	v_div_fmas_f32 v6, v6, v17, v39
	s_delay_alu instid0(VALU_DEP_1)
	v_div_fixup_f32 v6, v6, v49, v38
.LBB8_145:                              ;   in Loop: Header=BB8_71 Depth=2
	s_or_b32 exec_lo, exec_lo, s6
	s_delay_alu instid0(VALU_DEP_1) | instskip(SKIP_1) | instid1(VALU_DEP_1)
	v_mul_f32_e32 v17, v43, v6
	s_mov_b32 s6, exec_lo
	v_cmpx_le_f32_e32 0, v17
	s_cbranch_execz .LBB8_147
; %bb.146:                              ;   in Loop: Header=BB8_71 Depth=2
	v_div_scale_f32 v6, null, v40, v40, -v43
	s_delay_alu instid0(VALU_DEP_1) | instskip(SKIP_1) | instid1(TRANS32_DEP_1)
	v_rcp_f32_e32 v17, v6
	v_nop
	v_fma_f32 v29, -v6, v17, 1.0
	s_delay_alu instid0(VALU_DEP_1) | instskip(SKIP_1) | instid1(VALU_DEP_1)
	v_fmac_f32_e32 v17, v29, v17
	v_div_scale_f32 v29, vcc_lo, -v43, v40, -v43
	v_mul_f32_e32 v38, v29, v17
	s_delay_alu instid0(VALU_DEP_1) | instskip(NEXT) | instid1(VALU_DEP_1)
	v_fma_f32 v39, -v6, v38, v29
	v_fmac_f32_e32 v38, v39, v17
	s_delay_alu instid0(VALU_DEP_1) | instskip(NEXT) | instid1(VALU_DEP_1)
	v_fma_f32 v6, -v6, v38, v29
	v_div_fmas_f32 v6, v6, v17, v38
	s_delay_alu instid0(VALU_DEP_1)
	v_div_fixup_f32 v6, v6, v40, -v43
.LBB8_147:                              ;   in Loop: Header=BB8_71 Depth=2
	s_or_b32 exec_lo, exec_lo, s6
	v_cmp_lt_f32_e32 vcc_lo, 0, v43
	v_cmp_lt_f32_e64 s6, v11, v13
	v_cmp_lt_f32_e64 s7, v14, v11
	v_add_f32_e32 v29, v11, v6
	s_and_b32 vcc_lo, vcc_lo, s6
	s_delay_alu instid0(SALU_CYCLE_1) | instskip(SKIP_1) | instid1(VALU_DEP_2)
	v_dual_cndmask_b32 v17, v14, v11, s7 :: v_dual_cndmask_b32 v13, v13, v11, vcc_lo
	v_cmp_nge_f32_e32 vcc_lo, 0, v43
	v_cndmask_b32_e32 v14, v17, v14, vcc_lo
	s_delay_alu instid0(VALU_DEP_3) | instskip(NEXT) | instid1(VALU_DEP_2)
	v_cmp_gt_f32_e32 vcc_lo, v29, v13
	v_cmp_lt_f32_e64 s6, v29, v14
	s_or_b32 s7, vcc_lo, s6
	s_delay_alu instid0(SALU_CYCLE_1)
	s_and_saveexec_b32 s6, s7
	s_cbranch_execz .LBB8_153
; %bb.148:                              ;   in Loop: Header=BB8_71 Depth=2
	s_mov_b32 s7, exec_lo
                                        ; implicit-def: $vgpr6
	v_cmpx_ngt_f32_e32 0, v43
	s_xor_b32 s7, exec_lo, s7
; %bb.149:                              ;   in Loop: Header=BB8_71 Depth=2
	v_sub_f32_e32 v6, v14, v11
	s_delay_alu instid0(VALU_DEP_1)
	v_mul_f32_e32 v6, 0.5, v6
; %bb.150:                              ;   in Loop: Header=BB8_71 Depth=2
	s_and_not1_saveexec_b32 s7, s7
; %bb.151:                              ;   in Loop: Header=BB8_71 Depth=2
	v_sub_f32_e32 v6, v13, v11
	s_delay_alu instid0(VALU_DEP_1)
	v_mul_f32_e32 v6, 0.5, v6
; %bb.152:                              ;   in Loop: Header=BB8_71 Depth=2
	s_or_b32 exec_lo, exec_lo, s7
.LBB8_153:                              ;   in Loop: Header=BB8_71 Depth=2
	s_delay_alu instid0(SALU_CYCLE_1) | instskip(NEXT) | instid1(VALU_DEP_1)
	s_or_b32 exec_lo, exec_lo, s6
	v_dual_mov_b32 v39, 0 :: v_dual_sub_f32 v17, v25, v6
	s_delay_alu instid0(VALU_DEP_1)
	v_dual_mov_b32 v38, v39 :: v_dual_mov_b32 v25, v39
	global_store_b32 v[32:33], v17, off
	s_wait_xcnt 0x0
	s_and_saveexec_b32 s18, s5
	s_cbranch_execz .LBB8_157
; %bb.154:                              ;   in Loop: Header=BB8_71 Depth=2
	v_dual_mov_b32 v17, 0 :: v_dual_mov_b32 v25, v28
	v_mov_b64_e32 v[40:41], v[20:21]
	v_mov_b32_e32 v38, 0
	s_mov_b32 s36, 0
	s_delay_alu instid0(VALU_DEP_3)
	v_mov_b32_e32 v39, v17
	s_mov_b64 s[6:7], s[62:63]
.LBB8_155:                              ;   Parent Loop BB8_4 Depth=1
                                        ;     Parent Loop BB8_71 Depth=2
                                        ; =>    This Inner Loop Header: Depth=3
	global_load_b32 v29, v[40:41], off
	s_wait_loadcnt 0x0
	v_dual_add_nc_u32 v25, -1, v25 :: v_dual_sub_f32 v29, v29, v6
	global_store_b32 v[40:41], v29, off
	global_load_b32 v45, v3, s[6:7]
	s_wait_xcnt 0x1
	v_add_nc_u64_e32 v[40:41], 4, v[40:41]
	s_wait_xcnt 0x0
	s_add_nc_u64 s[6:7], s[6:7], 4
	s_wait_loadcnt 0x0
	v_div_scale_f32 v42, null, v29, v29, v45
	s_delay_alu instid0(VALU_DEP_1) | instskip(SKIP_1) | instid1(TRANS32_DEP_1)
	v_rcp_f32_e32 v44, v42
	v_nop
	v_fma_f32 v46, -v42, v44, 1.0
	s_delay_alu instid0(VALU_DEP_1) | instskip(SKIP_1) | instid1(VALU_DEP_1)
	v_fmac_f32_e32 v44, v46, v44
	v_div_scale_f32 v47, vcc_lo, v45, v29, v45
	v_mul_f32_e32 v46, v47, v44
	s_delay_alu instid0(VALU_DEP_1) | instskip(NEXT) | instid1(VALU_DEP_1)
	v_fma_f32 v48, -v42, v46, v47
	v_fmac_f32_e32 v46, v48, v44
	s_delay_alu instid0(VALU_DEP_1) | instskip(NEXT) | instid1(VALU_DEP_1)
	v_fma_f32 v42, -v42, v46, v47
	v_div_fmas_f32 v42, v42, v44, v46
	v_cmp_eq_u32_e32 vcc_lo, 0, v25
	s_delay_alu instid0(VALU_DEP_2) | instskip(SKIP_1) | instid1(VALU_DEP_1)
	v_div_fixup_f32 v44, v42, v29, v45
	s_or_b32 s36, vcc_lo, s36
	v_pk_fma_f32 v[38:39], v[44:45], v[44:45], v[38:39] op_sel_hi:[1,0,1]
	s_delay_alu instid0(VALU_DEP_1)
	v_add_f32_e32 v17, v17, v39
	s_and_not1_b32 exec_lo, exec_lo, s36
	s_cbranch_execnz .LBB8_155
; %bb.156:                              ;   in Loop: Header=BB8_71 Depth=2
	s_or_b32 exec_lo, exec_lo, s36
	s_delay_alu instid0(VALU_DEP_1)
	v_and_b32_e32 v25, 0x7fffffff, v17
.LBB8_157:                              ;   in Loop: Header=BB8_71 Depth=2
	s_or_b32 exec_lo, exec_lo, s18
	v_mov_b32_e32 v41, 0
	s_delay_alu instid0(VALU_DEP_1)
	v_mov_b32_e32 v40, v41
	s_and_saveexec_b32 s6, s4
	s_cbranch_execz .LBB8_161
; %bb.158:                              ;   in Loop: Header=BB8_71 Depth=2
	v_mov_b32_e32 v40, 0
	s_mov_b32 s7, 0
	s_mov_b32 s18, s70
	s_delay_alu instid0(VALU_DEP_1)
	v_mov_b32_e32 v41, v40
.LBB8_159:                              ;   Parent Loop BB8_4 Depth=1
                                        ;     Parent Loop BB8_71 Depth=2
                                        ; =>    This Inner Loop Header: Depth=3
	v_lshl_add_u64 v[44:45], s[18:19], 2, v[36:37]
	v_mov_b32_e32 v29, s18
	s_add_co_i32 s18, s18, -1
	global_load_b32 v17, v[44:45], off
	s_wait_loadcnt 0x0
	v_sub_f32_e32 v17, v17, v6
	global_store_b32 v[44:45], v17, off
	global_load_b32 v45, v29, s[62:63] scale_offset
	s_wait_loadcnt 0x0
	v_div_scale_f32 v29, null, v17, v17, v45
	v_div_scale_f32 v46, vcc_lo, v45, v17, v45
	s_delay_alu instid0(VALU_DEP_2) | instskip(SKIP_1) | instid1(TRANS32_DEP_1)
	v_rcp_f32_e32 v42, v29
	v_nop
	v_fma_f32 v44, -v29, v42, 1.0
	s_delay_alu instid0(VALU_DEP_1) | instskip(NEXT) | instid1(VALU_DEP_1)
	v_fmac_f32_e32 v42, v44, v42
	v_mul_f32_e32 v44, v46, v42
	s_delay_alu instid0(VALU_DEP_1) | instskip(NEXT) | instid1(VALU_DEP_1)
	v_fma_f32 v47, -v29, v44, v46
	v_fmac_f32_e32 v44, v47, v42
	s_delay_alu instid0(VALU_DEP_1) | instskip(NEXT) | instid1(VALU_DEP_1)
	v_fma_f32 v29, -v29, v44, v46
	v_div_fmas_f32 v29, v29, v42, v44
	v_cmp_le_u32_e32 vcc_lo, s18, v28
	s_delay_alu instid0(VALU_DEP_2) | instskip(SKIP_1) | instid1(VALU_DEP_1)
	v_div_fixup_f32 v44, v29, v17, v45
	s_or_b32 s7, vcc_lo, s7
	v_pk_fma_f32 v[40:41], v[44:45], v[44:45], v[40:41] op_sel_hi:[1,0,1]
	s_delay_alu instid0(VALU_DEP_1)
	v_add_f32_e32 v25, v25, v41
	s_and_not1_b32 exec_lo, exec_lo, s7
	s_cbranch_execnz .LBB8_159
; %bb.160:                              ;   in Loop: Header=BB8_71 Depth=2
	s_or_b32 exec_lo, exec_lo, s7
.LBB8_161:                              ;   in Loop: Header=BB8_71 Depth=2
	s_delay_alu instid0(SALU_CYCLE_1)
	s_or_b32 exec_lo, exec_lo, s6
	global_load_b32 v45, v[34:35], off
	global_load_b32 v17, v[32:33], off
	v_and_b32_e32 v44, 0x7fffffff, v43
	v_add_nc_u64_e32 v[30:31], s[78:79], v[30:31]
	s_mov_b32 s47, 1
	s_mov_b32 s18, 0
                                        ; implicit-def: $sgpr90
	v_add_f32_e32 v11, v11, v6
	v_div_scale_f32 v48, null, 0x41200000, 0x41200000, v44
	s_delay_alu instid0(VALU_DEP_1) | instskip(SKIP_1) | instid1(TRANS32_DEP_1)
	v_rcp_f32_e32 v49, v48
	v_nop
	v_fma_f32 v47, -v48, v49, 1.0
	s_delay_alu instid0(VALU_DEP_1) | instskip(SKIP_3) | instid1(VALU_DEP_2)
	v_fmac_f32_e32 v49, v47, v49
	s_wait_loadcnt 0x0
	v_div_scale_f32 v29, null, v17, v17, v45
	v_div_scale_f32 v42, vcc_lo, v45, v17, v45
	v_rcp_f32_e32 v36, v29
	v_nop
	s_delay_alu instid0(TRANS32_DEP_1) | instskip(NEXT) | instid1(VALU_DEP_1)
	v_fma_f32 v37, -v29, v36, 1.0
	v_fmac_f32_e32 v36, v37, v36
	s_delay_alu instid0(VALU_DEP_1) | instskip(NEXT) | instid1(VALU_DEP_1)
	v_mul_f32_e32 v46, v42, v36
	v_fma_f32 v37, -v29, v46, v42
	s_delay_alu instid0(VALU_DEP_1) | instskip(NEXT) | instid1(VALU_DEP_1)
	v_dual_fmac_f32 v46, v37, v36 :: v_dual_add_f32 v37, v12, v39
	v_fma_f32 v29, -v29, v46, v42
	v_div_scale_f32 v42, s6, v44, 0x41200000, v44
	s_delay_alu instid0(VALU_DEP_2) | instskip(SKIP_1) | instid1(VALU_DEP_3)
	v_div_fmas_f32 v29, v29, v36, v46
	v_mov_b32_e32 v36, v38
	v_mul_f32_e32 v58, v42, v49
	s_mov_b32 vcc_lo, s6
	s_delay_alu instid0(VALU_DEP_3) | instskip(NEXT) | instid1(VALU_DEP_3)
	v_div_fixup_f32 v44, v29, v17, v45
	v_pk_add_f32 v[36:37], v[36:37], v[40:41]
	s_delay_alu instid0(VALU_DEP_3) | instskip(NEXT) | instid1(VALU_DEP_3)
	v_dual_fma_f32 v6, -v48, v58, v42 :: v_dual_sub_f32 v29, v41, v39
	v_pk_mul_f32 v[46:47], v[44:45], v[44:45] op_sel_hi:[1,0]
	s_delay_alu instid0(VALU_DEP_3) | instskip(SKIP_1) | instid1(VALU_DEP_4)
	v_pk_fma_f32 v[36:37], v[44:45], v[44:45], v[36:37] op_sel_hi:[1,0,1]
	v_and_b32_e32 v46, 0x7fffffff, v11
	v_dual_fmac_f32 v58, v6, v49 :: v_dual_fmamk_f32 v29, v29, 0x41000000, v57
	s_delay_alu instid0(VALU_DEP_4) | instskip(NEXT) | instid1(VALU_DEP_4)
	v_and_b32_e32 v47, 0x7fffffff, v47
	v_mov_b32_e32 v6, v36
	s_delay_alu instid0(VALU_DEP_1) | instskip(NEXT) | instid1(VALU_DEP_1)
	v_pk_mul_f32 v[46:47], v[46:47], v[6:7]
	v_dual_fma_f32 v39, -v48, v58, v42 :: v_dual_add_f32 v29, v29, v47
	s_delay_alu instid0(VALU_DEP_1) | instskip(NEXT) | instid1(VALU_DEP_1)
	v_div_fmas_f32 v6, v39, v49, v58
	v_div_fixup_f32 v39, v6, 0x41200000, |v43|
	s_delay_alu instid0(VALU_DEP_3) | instskip(SKIP_1) | instid1(VALU_DEP_2)
	v_add_f32_e32 v6, v46, v29
	v_cndmask_b32_e64 v29, v37, -v37, s2
	v_add_f32_e32 v6, v25, v6
	s_delay_alu instid0(VALU_DEP_2)
	v_cmp_gt_f32_e64 s96, v29, v39
	s_branch .LBB8_164
.LBB8_162:                              ;   in Loop: Header=BB8_164 Depth=3
	s_or_b32 exec_lo, exec_lo, s36
	global_load_b32 v45, v[34:35], off
	global_load_b32 v17, v[32:33], off
	v_and_b32_e32 v42, 0x7fffffff, v37
	s_add_co_i32 s47, s47, 1
	v_add_f32_e32 v11, v11, v6
	s_delay_alu instid0(VALU_DEP_2) | instskip(SKIP_2) | instid1(VALU_DEP_3)
	v_div_scale_f32 v46, null, 0x41200000, 0x41200000, v42
	v_div_scale_f32 v58, s6, v42, 0x41200000, v42
	v_mov_b32_e32 v42, v38
	v_rcp_f32_e32 v48, v46
	s_wait_loadcnt 0x0
	v_div_scale_f32 v29, null, v17, v17, v45
	v_div_scale_f32 v44, vcc_lo, v45, v17, v45
	s_delay_alu instid0(VALU_DEP_2) | instskip(SKIP_1) | instid1(TRANS32_DEP_1)
	v_rcp_f32_e32 v36, v29
	v_nop
	v_fma_f32 v43, -v29, v36, 1.0
	s_delay_alu instid0(VALU_DEP_1) | instskip(SKIP_1) | instid1(VALU_DEP_1)
	v_fmac_f32_e32 v36, v43, v36
	v_fma_f32 v43, -v46, v48, 1.0
	v_dual_fmac_f32 v48, v43, v48 :: v_dual_add_f32 v43, v12, v39
	s_delay_alu instid0(VALU_DEP_3) | instskip(NEXT) | instid1(VALU_DEP_2)
	v_mul_f32_e32 v47, v44, v36
	v_pk_add_f32 v[42:43], v[42:43], v[40:41]
	s_delay_alu instid0(VALU_DEP_2) | instskip(NEXT) | instid1(VALU_DEP_1)
	v_fma_f32 v49, -v29, v47, v44
	v_fmac_f32_e32 v47, v49, v36
	s_delay_alu instid0(VALU_DEP_1) | instskip(NEXT) | instid1(VALU_DEP_1)
	v_dual_mul_f32 v49, v58, v48 :: v_dual_fma_f32 v29, -v29, v47, v44
	v_div_fmas_f32 v29, v29, v36, v47
	s_delay_alu instid0(VALU_DEP_2) | instskip(SKIP_1) | instid1(VALU_DEP_1)
	v_dual_sub_f32 v36, v41, v39 :: v_dual_fma_f32 v44, -v46, v49, v58
	s_mov_b32 vcc_lo, s6
	v_fmamk_f32 v41, v36, 0x41000000, v57
	s_delay_alu instid0(VALU_DEP_2) | instskip(SKIP_1) | instid1(VALU_DEP_1)
	v_fmac_f32_e32 v49, v44, v48
	v_div_fixup_f32 v44, v29, v17, v45
	v_pk_fma_f32 v[42:43], v[44:45], v[44:45], v[42:43] op_sel_hi:[1,0,1]
	s_delay_alu instid0(VALU_DEP_3) | instskip(SKIP_2) | instid1(VALU_DEP_4)
	v_fma_f32 v6, -v46, v49, v58
	v_pk_mul_f32 v[46:47], v[44:45], v[44:45] op_sel_hi:[1,0]
	v_and_b32_e32 v46, 0x7fffffff, v11
	v_mul_f32_e32 v39, v37, v43
	s_delay_alu instid0(VALU_DEP_4) | instskip(NEXT) | instid1(VALU_DEP_4)
	v_div_fmas_f32 v29, v6, v48, v49
	v_and_b32_e32 v47, 0x7fffffff, v47
	v_mov_b32_e32 v6, v42
	s_delay_alu instid0(VALU_DEP_4) | instskip(NEXT) | instid1(VALU_DEP_4)
	v_cmp_lt_f32_e32 vcc_lo, 0, v39
	v_div_fixup_f32 v29, v29, 0x41200000, |v37|
	s_delay_alu instid0(VALU_DEP_3) | instskip(NEXT) | instid1(VALU_DEP_2)
	v_pk_mul_f32 v[36:37], v[46:47], v[6:7]
	v_cmp_gt_f32_e64 s6, |v43|, v29
	s_delay_alu instid0(VALU_DEP_2) | instskip(SKIP_1) | instid1(VALU_DEP_1)
	v_add_f32_e32 v6, v41, v37
	s_and_b32 s6, vcc_lo, s6
	v_add_f32_e32 v6, v36, v6
	s_xor_b32 s6, s96, s6
	s_cmp_eq_u32 s47, 50
	v_mov_b64_e32 v[36:37], v[42:43]
	s_cselect_b32 s7, -1, 0
	v_add_f32_e32 v6, v25, v6
	s_and_not1_b32 s36, s90, exec_lo
	s_and_b32 s7, s7, exec_lo
                                        ; implicit-def: $sgpr96
	s_delay_alu instid0(SALU_CYCLE_1)
	s_or_b32 s90, s36, s7
.LBB8_163:                              ;   in Loop: Header=BB8_164 Depth=3
	s_wait_xcnt 0x0
	s_or_b32 exec_lo, exec_lo, s84
	s_delay_alu instid0(SALU_CYCLE_1) | instskip(NEXT) | instid1(SALU_CYCLE_1)
	s_and_b32 s7, exec_lo, s90
	s_or_b32 s18, s7, s18
	s_and_not1_b32 s7, s96, exec_lo
	s_and_b32 s6, s6, exec_lo
	s_delay_alu instid0(SALU_CYCLE_1)
	s_or_b32 s96, s7, s6
	s_and_not1_b32 exec_lo, exec_lo, s18
	s_cbranch_execz .LBB8_207
.LBB8_164:                              ;   Parent Loop BB8_4 Depth=1
                                        ;     Parent Loop BB8_71 Depth=2
                                        ; =>    This Loop Header: Depth=3
                                        ;         Child Loop BB8_201 Depth 4
                                        ;         Child Loop BB8_205 Depth 4
	s_delay_alu instid0(VALU_DEP_2) | instskip(SKIP_1) | instid1(VALU_DEP_1)
	v_mul_f32_e32 v6, s82, v6
	s_or_b32 s90, s90, exec_lo
                                        ; implicit-def: $sgpr6
	v_cmp_nle_f32_e64 s7, |v37|, v6
                                        ; implicit-def: $vgpr6
	s_wait_xcnt 0x0
	s_and_saveexec_b32 s84, s7
	s_cbranch_execz .LBB8_163
; %bb.165:                              ;   in Loop: Header=BB8_164 Depth=3
	global_load_b64 v[42:43], v[22:23], off
	s_xor_b32 s7, s96, -1
                                        ; implicit-def: $vgpr25
	s_wait_xcnt 0x0
	s_and_saveexec_b32 s6, s7
	s_delay_alu instid0(SALU_CYCLE_1)
	s_xor_b32 s6, exec_lo, s6
	s_cbranch_execz .LBB8_167
; %bb.166:                              ;   in Loop: Header=BB8_164 Depth=3
	v_dual_fma_f32 v6, v44, v44, v38 :: v_dual_fma_f32 v25, v44, v44, v40
	s_delay_alu instid0(VALU_DEP_1) | instskip(SKIP_1) | instid1(VALU_DEP_1)
	v_dual_cndmask_b32 v38, v38, v6, s2 :: v_dual_cndmask_b32 v40, v25, v40, s2
	s_wait_loadcnt 0x0
	v_fma_f32 v6, -v38, v42, v37
	s_delay_alu instid0(VALU_DEP_1)
	v_fma_f32 v25, -v40, v43, v6
.LBB8_167:                              ;   in Loop: Header=BB8_164 Depth=3
	s_and_not1_saveexec_b32 s6, s6
	s_cbranch_execz .LBB8_173
; %bb.168:                              ;   in Loop: Header=BB8_164 Depth=3
                                        ; implicit-def: $vgpr25
	s_and_saveexec_b32 s36, s3
	s_delay_alu instid0(SALU_CYCLE_1)
	s_xor_b32 s36, exec_lo, s36
	s_cbranch_execz .LBB8_170
; %bb.169:                              ;   in Loop: Header=BB8_164 Depth=3
	global_load_b32 v6, v[26:27], off offset:4
	s_wait_loadcnt 0x0
	v_mul_f32_e32 v25, v8, v6
	s_delay_alu instid0(VALU_DEP_1) | instskip(NEXT) | instid1(VALU_DEP_1)
	v_mul_f32_e32 v6, v6, v25
	v_div_scale_f32 v25, null, v43, v43, v6
	v_div_scale_f32 v41, vcc_lo, v6, v43, v6
	s_delay_alu instid0(VALU_DEP_2) | instskip(SKIP_1) | instid1(TRANS32_DEP_1)
	v_rcp_f32_e32 v29, v25
	v_nop
	v_fma_f32 v39, -v25, v29, 1.0
	s_delay_alu instid0(VALU_DEP_1) | instskip(NEXT) | instid1(VALU_DEP_1)
	v_fmac_f32_e32 v29, v39, v29
	v_mul_f32_e32 v39, v41, v29
	s_delay_alu instid0(VALU_DEP_1) | instskip(NEXT) | instid1(VALU_DEP_1)
	v_fma_f32 v44, -v25, v39, v41
	v_fmac_f32_e32 v39, v44, v29
	s_delay_alu instid0(VALU_DEP_1) | instskip(NEXT) | instid1(VALU_DEP_1)
	v_fma_f32 v25, -v25, v39, v41
	v_div_fmas_f32 v25, v25, v29, v39
	s_delay_alu instid0(VALU_DEP_1) | instskip(NEXT) | instid1(VALU_DEP_1)
	v_div_fixup_f32 v6, v25, v43, v6
	v_div_scale_f32 v25, null, v43, v43, v6
	s_delay_alu instid0(VALU_DEP_1) | instskip(SKIP_1) | instid1(TRANS32_DEP_1)
	v_rcp_f32_e32 v29, v25
	v_nop
	v_fma_f32 v39, -v25, v29, 1.0
	s_delay_alu instid0(VALU_DEP_1) | instskip(SKIP_1) | instid1(VALU_DEP_1)
	v_fmac_f32_e32 v29, v39, v29
	v_div_scale_f32 v39, vcc_lo, v6, v43, v6
	v_mul_f32_e32 v41, v39, v29
	s_delay_alu instid0(VALU_DEP_1) | instskip(NEXT) | instid1(VALU_DEP_1)
	v_fma_f32 v44, -v25, v41, v39
	v_fmac_f32_e32 v41, v44, v29
	s_delay_alu instid0(VALU_DEP_1) | instskip(NEXT) | instid1(VALU_DEP_1)
	v_fma_f32 v25, -v25, v41, v39
	v_div_fmas_f32 v25, v25, v29, v41
	v_fma_f32 v29, -v36, v42, v37
	s_delay_alu instid0(VALU_DEP_2) | instskip(NEXT) | instid1(VALU_DEP_1)
	v_div_fixup_f32 v6, v25, v43, v6
	v_sub_f32_e32 v25, v29, v6
.LBB8_170:                              ;   in Loop: Header=BB8_164 Depth=3
	s_wait_xcnt 0x0
	s_and_not1_saveexec_b32 s36, s36
	s_cbranch_execz .LBB8_172
; %bb.171:                              ;   in Loop: Header=BB8_164 Depth=3
	global_load_b32 v6, v[26:27], off
	s_wait_loadcnt 0x0
	v_mul_f32_e32 v25, v2, v6
	s_delay_alu instid0(VALU_DEP_1) | instskip(NEXT) | instid1(VALU_DEP_1)
	v_mul_f32_e32 v6, v6, v25
	v_div_scale_f32 v25, null, v42, v42, v6
	v_div_scale_f32 v41, vcc_lo, v6, v42, v6
	s_delay_alu instid0(VALU_DEP_2) | instskip(SKIP_1) | instid1(TRANS32_DEP_1)
	v_rcp_f32_e32 v29, v25
	v_nop
	v_fma_f32 v39, -v25, v29, 1.0
	s_delay_alu instid0(VALU_DEP_1) | instskip(NEXT) | instid1(VALU_DEP_1)
	v_fmac_f32_e32 v29, v39, v29
	v_mul_f32_e32 v39, v41, v29
	s_delay_alu instid0(VALU_DEP_1) | instskip(NEXT) | instid1(VALU_DEP_1)
	v_fma_f32 v44, -v25, v39, v41
	v_fmac_f32_e32 v39, v44, v29
	s_delay_alu instid0(VALU_DEP_1) | instskip(NEXT) | instid1(VALU_DEP_1)
	v_fma_f32 v25, -v25, v39, v41
	v_div_fmas_f32 v25, v25, v29, v39
	s_delay_alu instid0(VALU_DEP_1) | instskip(NEXT) | instid1(VALU_DEP_1)
	v_div_fixup_f32 v6, v25, v42, v6
	v_div_scale_f32 v25, null, v42, v42, v6
	s_delay_alu instid0(VALU_DEP_1) | instskip(SKIP_1) | instid1(TRANS32_DEP_1)
	v_rcp_f32_e32 v29, v25
	v_nop
	v_fma_f32 v39, -v25, v29, 1.0
	s_delay_alu instid0(VALU_DEP_1) | instskip(SKIP_1) | instid1(VALU_DEP_1)
	v_fmac_f32_e32 v29, v39, v29
	v_div_scale_f32 v39, vcc_lo, v6, v42, v6
	v_mul_f32_e32 v41, v39, v29
	s_delay_alu instid0(VALU_DEP_1) | instskip(NEXT) | instid1(VALU_DEP_1)
	v_fma_f32 v44, -v25, v41, v39
	v_fmac_f32_e32 v41, v44, v29
	s_delay_alu instid0(VALU_DEP_1) | instskip(NEXT) | instid1(VALU_DEP_1)
	v_fma_f32 v25, -v25, v41, v39
	v_div_fmas_f32 v25, v25, v29, v41
	v_fma_f32 v29, -v36, v43, v37
	s_delay_alu instid0(VALU_DEP_2) | instskip(NEXT) | instid1(VALU_DEP_1)
	v_div_fixup_f32 v6, v25, v42, v6
	v_sub_f32_e32 v25, v29, v6
.LBB8_172:                              ;   in Loop: Header=BB8_164 Depth=3
	s_wait_xcnt 0x0
	s_or_b32 exec_lo, exec_lo, s36
.LBB8_173:                              ;   in Loop: Header=BB8_164 Depth=3
	s_delay_alu instid0(SALU_CYCLE_1) | instskip(SKIP_4) | instid1(VALU_DEP_1)
	s_or_b32 exec_lo, exec_lo, s6
	s_wait_loadcnt 0x0
	v_dual_add_f32 v47, v42, v43 :: v_dual_mov_b32 v48, v42
	v_dual_mov_b32 v49, v37 :: v_dual_mov_b32 v46, v43
                                        ; implicit-def: $vgpr6
	s_mov_b32 s6, exec_lo
	v_pk_mul_f32 v[44:45], v[48:49], v[46:47]
	s_delay_alu instid0(VALU_DEP_1) | instskip(NEXT) | instid1(VALU_DEP_1)
	v_pk_mul_f32 v[58:59], v[36:37], v[44:45]
	v_dual_mov_b32 v60, v37 :: v_dual_mov_b32 v61, v58
	s_delay_alu instid0(VALU_DEP_1)
	v_pk_mul_f32 v[44:45], v[44:45], v[60:61]
	v_pk_fma_f32 v[46:47], v[48:49], v[46:47], v[60:61] neg_lo:[0,0,1] neg_hi:[0,0,1]
	v_cmpx_neq_f32_e32 0, v25
	s_xor_b32 s36, exec_lo, s6
	s_cbranch_execz .LBB8_179
; %bb.174:                              ;   in Loop: Header=BB8_164 Depth=3
	s_delay_alu instid0(VALU_DEP_2) | instskip(NEXT) | instid1(VALU_DEP_1)
	v_dual_mul_f32 v6, v47, v47 :: v_dual_mul_f32 v29, -4.0, v44
	v_fmac_f32_e32 v6, v29, v25
	s_delay_alu instid0(VALU_DEP_1) | instskip(SKIP_1) | instid1(VALU_DEP_1)
	v_mul_f32_e64 v29, 0x4f800000, |v6|
	v_cmp_gt_f32_e64 vcc_lo, 0xf800000, |v6|
	v_cndmask_b32_e64 v6, |v6|, v29, vcc_lo
	s_delay_alu instid0(VALU_DEP_1) | instskip(SKIP_1) | instid1(TRANS32_DEP_1)
	v_sqrt_f32_e32 v29, v6
	v_nop
	v_dual_add_nc_u32 v38, -1, v29 :: v_dual_add_nc_u32 v39, 1, v29
	s_delay_alu instid0(VALU_DEP_1) | instskip(NEXT) | instid1(VALU_DEP_1)
	v_dual_fma_f32 v40, -v38, v29, v6 :: v_dual_fma_f32 v41, -v39, v29, v6
	v_cmp_ge_f32_e64 s6, 0, v40
	s_delay_alu instid0(VALU_DEP_1) | instskip(NEXT) | instid1(VALU_DEP_3)
	v_cndmask_b32_e64 v29, v29, v38, s6
	v_cmp_lt_f32_e64 s6, 0, v41
	s_delay_alu instid0(VALU_DEP_1) | instskip(SKIP_1) | instid1(VALU_DEP_1)
	v_cndmask_b32_e64 v29, v29, v39, s6
	s_mov_b32 s6, exec_lo
	v_mul_f32_e32 v38, 0x37800000, v29
	s_delay_alu instid0(VALU_DEP_1) | instskip(SKIP_1) | instid1(VALU_DEP_2)
	v_cndmask_b32_e32 v29, v29, v38, vcc_lo
	v_cmp_class_f32_e64 vcc_lo, v6, 0x260
	v_cndmask_b32_e32 v29, v29, v6, vcc_lo
                                        ; implicit-def: $vgpr6
	v_cmpx_ge_f32_e32 0, v47
	s_xor_b32 s6, exec_lo, s6
	s_cbranch_execz .LBB8_176
; %bb.175:                              ;   in Loop: Header=BB8_164 Depth=3
	s_delay_alu instid0(VALU_DEP_2) | instskip(SKIP_1) | instid1(VALU_DEP_1)
	v_sub_f32_e32 v6, v47, v29
	v_add_f32_e32 v25, v25, v25
                                        ; implicit-def: $vgpr44_vgpr45
                                        ; implicit-def: $vgpr46_vgpr47
	v_div_scale_f32 v29, null, v25, v25, v6
	s_delay_alu instid0(VALU_DEP_1) | instskip(SKIP_1) | instid1(TRANS32_DEP_1)
	v_rcp_f32_e32 v38, v29
	v_nop
	v_fma_f32 v39, -v29, v38, 1.0
	s_delay_alu instid0(VALU_DEP_1) | instskip(SKIP_1) | instid1(VALU_DEP_1)
	v_fmac_f32_e32 v38, v39, v38
	v_div_scale_f32 v39, vcc_lo, v6, v25, v6
	v_mul_f32_e32 v40, v39, v38
	s_delay_alu instid0(VALU_DEP_1) | instskip(NEXT) | instid1(VALU_DEP_1)
	v_fma_f32 v41, -v29, v40, v39
	v_fmac_f32_e32 v40, v41, v38
	s_delay_alu instid0(VALU_DEP_1) | instskip(NEXT) | instid1(VALU_DEP_1)
	v_fma_f32 v29, -v29, v40, v39
	v_div_fmas_f32 v29, v29, v38, v40
	s_delay_alu instid0(VALU_DEP_1)
	v_div_fixup_f32 v6, v29, v25, v6
                                        ; implicit-def: $vgpr29
.LBB8_176:                              ;   in Loop: Header=BB8_164 Depth=3
	s_and_not1_saveexec_b32 s6, s6
	s_cbranch_execz .LBB8_178
; %bb.177:                              ;   in Loop: Header=BB8_164 Depth=3
	v_dual_add_f32 v6, v44, v44 :: v_dual_add_f32 v25, v47, v29
	s_delay_alu instid0(VALU_DEP_1) | instskip(NEXT) | instid1(VALU_DEP_1)
	v_div_scale_f32 v29, null, v25, v25, v6
	v_rcp_f32_e32 v38, v29
	v_nop
	s_delay_alu instid0(TRANS32_DEP_1) | instskip(NEXT) | instid1(VALU_DEP_1)
	v_fma_f32 v39, -v29, v38, 1.0
	v_fmac_f32_e32 v38, v39, v38
	v_div_scale_f32 v39, vcc_lo, v6, v25, v6
	s_delay_alu instid0(VALU_DEP_1) | instskip(NEXT) | instid1(VALU_DEP_1)
	v_mul_f32_e32 v40, v39, v38
	v_fma_f32 v41, -v29, v40, v39
	s_delay_alu instid0(VALU_DEP_1) | instskip(NEXT) | instid1(VALU_DEP_1)
	v_fmac_f32_e32 v40, v41, v38
	v_fma_f32 v29, -v29, v40, v39
	s_delay_alu instid0(VALU_DEP_1) | instskip(NEXT) | instid1(VALU_DEP_1)
	v_div_fmas_f32 v29, v29, v38, v40
	v_div_fixup_f32 v6, v29, v25, v6
.LBB8_178:                              ;   in Loop: Header=BB8_164 Depth=3
	s_or_b32 exec_lo, exec_lo, s6
                                        ; implicit-def: $vgpr47
                                        ; implicit-def: $vgpr44_vgpr45
                                        ; implicit-def: $vgpr42_vgpr43
                                        ; implicit-def: $vgpr40
                                        ; implicit-def: $vgpr38
.LBB8_179:                              ;   in Loop: Header=BB8_164 Depth=3
	s_and_not1_saveexec_b32 s6, s36
	s_cbranch_execz .LBB8_191
; %bb.180:                              ;   in Loop: Header=BB8_164 Depth=3
	s_mov_b32 s36, exec_lo
	v_cmpx_eq_f32_e32 0, v47
	s_cbranch_execz .LBB8_190
; %bb.181:                              ;   in Loop: Header=BB8_164 Depth=3
                                        ; implicit-def: $vgpr47
	s_and_saveexec_b32 s37, s7
	s_delay_alu instid0(SALU_CYCLE_1)
	s_xor_b32 s7, exec_lo, s37
; %bb.182:                              ;   in Loop: Header=BB8_164 Depth=3
	v_dual_mul_f32 v6, v43, v43 :: v_dual_mul_f32 v25, v42, v42
                                        ; implicit-def: $vgpr42_vgpr43
	s_delay_alu instid0(VALU_DEP_1) | instskip(NEXT) | instid1(VALU_DEP_1)
	v_mul_f32_e32 v47, v6, v40
                                        ; implicit-def: $vgpr40
	v_fmac_f32_e32 v47, v25, v38
                                        ; implicit-def: $vgpr38
; %bb.183:                              ;   in Loop: Header=BB8_164 Depth=3
	s_and_not1_saveexec_b32 s7, s7
	s_cbranch_execz .LBB8_189
; %bb.184:                              ;   in Loop: Header=BB8_164 Depth=3
	v_add_f32_e32 v38, v38, v40
                                        ; implicit-def: $vgpr47
	s_and_saveexec_b32 s37, s3
	s_delay_alu instid0(SALU_CYCLE_1)
	s_xor_b32 s37, exec_lo, s37
	s_cbranch_execz .LBB8_186
; %bb.185:                              ;   in Loop: Header=BB8_164 Depth=3
	global_load_b32 v41, v[26:27], off offset:4
	v_mul_f32_e32 v40, v42, v42
                                        ; implicit-def: $vgpr42_vgpr43
	s_wait_loadcnt 0x0
	v_mov_b32_e32 v39, v41
	s_delay_alu instid0(VALU_DEP_1) | instskip(NEXT) | instid1(VALU_DEP_1)
	v_pk_mul_f32 v[38:39], v[40:41], v[38:39]
	v_add_f32_e32 v47, v38, v39
                                        ; implicit-def: $vgpr38
.LBB8_186:                              ;   in Loop: Header=BB8_164 Depth=3
	s_wait_xcnt 0x0
	s_and_not1_saveexec_b32 s37, s37
	s_cbranch_execz .LBB8_188
; %bb.187:                              ;   in Loop: Header=BB8_164 Depth=3
	global_load_b32 v41, v[26:27], off
	s_wait_loadcnt 0x0
	v_dual_mul_f32 v40, v43, v43 :: v_dual_mov_b32 v39, v41
	s_delay_alu instid0(VALU_DEP_1) | instskip(NEXT) | instid1(VALU_DEP_1)
	v_pk_mul_f32 v[38:39], v[40:41], v[38:39]
	v_add_f32_e32 v47, v38, v39
.LBB8_188:                              ;   in Loop: Header=BB8_164 Depth=3
	s_wait_xcnt 0x0
	s_or_b32 exec_lo, exec_lo, s37
.LBB8_189:                              ;   in Loop: Header=BB8_164 Depth=3
	s_delay_alu instid0(SALU_CYCLE_1)
	s_or_b32 exec_lo, exec_lo, s7
.LBB8_190:                              ;   in Loop: Header=BB8_164 Depth=3
	s_delay_alu instid0(SALU_CYCLE_1) | instskip(SKIP_1) | instid1(VALU_DEP_1)
	s_or_b32 exec_lo, exec_lo, s36
	v_div_scale_f32 v6, null, v47, v47, v44
	v_rcp_f32_e32 v25, v6
	v_nop
	s_delay_alu instid0(TRANS32_DEP_1) | instskip(NEXT) | instid1(VALU_DEP_1)
	v_fma_f32 v29, -v6, v25, 1.0
	v_fmac_f32_e32 v25, v29, v25
	v_div_scale_f32 v29, vcc_lo, v44, v47, v44
	s_delay_alu instid0(VALU_DEP_1) | instskip(NEXT) | instid1(VALU_DEP_1)
	v_mul_f32_e32 v38, v29, v25
	v_fma_f32 v39, -v6, v38, v29
	s_delay_alu instid0(VALU_DEP_1) | instskip(NEXT) | instid1(VALU_DEP_1)
	v_fmac_f32_e32 v38, v39, v25
	v_fma_f32 v6, -v6, v38, v29
	s_delay_alu instid0(VALU_DEP_1) | instskip(NEXT) | instid1(VALU_DEP_1)
	v_div_fmas_f32 v6, v6, v25, v38
	v_div_fixup_f32 v6, v6, v47, v44
.LBB8_191:                              ;   in Loop: Header=BB8_164 Depth=3
	s_or_b32 exec_lo, exec_lo, s6
	s_delay_alu instid0(VALU_DEP_1) | instskip(SKIP_1) | instid1(VALU_DEP_1)
	v_mul_f32_e32 v25, v37, v6
	s_mov_b32 s6, exec_lo
	v_cmpx_le_f32_e32 0, v25
	s_cbranch_execz .LBB8_193
; %bb.192:                              ;   in Loop: Header=BB8_164 Depth=3
	v_div_scale_f32 v6, null, v36, v36, -v37
	s_delay_alu instid0(VALU_DEP_1) | instskip(SKIP_1) | instid1(TRANS32_DEP_1)
	v_rcp_f32_e32 v25, v6
	v_nop
	v_fma_f32 v29, -v6, v25, 1.0
	s_delay_alu instid0(VALU_DEP_1) | instskip(SKIP_1) | instid1(VALU_DEP_1)
	v_fmac_f32_e32 v25, v29, v25
	v_div_scale_f32 v29, vcc_lo, -v37, v36, -v37
	v_mul_f32_e32 v38, v29, v25
	s_delay_alu instid0(VALU_DEP_1) | instskip(NEXT) | instid1(VALU_DEP_1)
	v_fma_f32 v39, -v6, v38, v29
	v_fmac_f32_e32 v38, v39, v25
	s_delay_alu instid0(VALU_DEP_1) | instskip(NEXT) | instid1(VALU_DEP_1)
	v_fma_f32 v6, -v6, v38, v29
	v_div_fmas_f32 v6, v6, v25, v38
	s_delay_alu instid0(VALU_DEP_1)
	v_div_fixup_f32 v6, v6, v36, -v37
.LBB8_193:                              ;   in Loop: Header=BB8_164 Depth=3
	s_or_b32 exec_lo, exec_lo, s6
	v_cmp_lt_f32_e32 vcc_lo, 0, v37
	v_cmp_lt_f32_e64 s6, v11, v13
	v_cmp_lt_f32_e64 s7, v14, v11
	v_add_f32_e32 v29, v11, v6
	s_and_b32 vcc_lo, vcc_lo, s6
	s_delay_alu instid0(SALU_CYCLE_1) | instskip(SKIP_1) | instid1(VALU_DEP_2)
	v_dual_cndmask_b32 v25, v14, v11, s7 :: v_dual_cndmask_b32 v13, v13, v11, vcc_lo
	v_cmp_nge_f32_e32 vcc_lo, 0, v37
	v_cndmask_b32_e32 v14, v25, v14, vcc_lo
	s_delay_alu instid0(VALU_DEP_3) | instskip(NEXT) | instid1(VALU_DEP_2)
	v_cmp_gt_f32_e32 vcc_lo, v29, v13
	v_cmp_lt_f32_e64 s6, v29, v14
	s_or_b32 s7, vcc_lo, s6
	s_delay_alu instid0(SALU_CYCLE_1)
	s_and_saveexec_b32 s6, s7
	s_cbranch_execz .LBB8_199
; %bb.194:                              ;   in Loop: Header=BB8_164 Depth=3
	s_mov_b32 s7, exec_lo
                                        ; implicit-def: $vgpr6
	v_cmpx_ngt_f32_e32 0, v37
	s_xor_b32 s7, exec_lo, s7
; %bb.195:                              ;   in Loop: Header=BB8_164 Depth=3
	v_sub_f32_e32 v6, v14, v11
	s_delay_alu instid0(VALU_DEP_1)
	v_mul_f32_e32 v6, 0.5, v6
; %bb.196:                              ;   in Loop: Header=BB8_164 Depth=3
	s_and_not1_saveexec_b32 s7, s7
; %bb.197:                              ;   in Loop: Header=BB8_164 Depth=3
	v_sub_f32_e32 v6, v13, v11
	s_delay_alu instid0(VALU_DEP_1)
	v_mul_f32_e32 v6, 0.5, v6
; %bb.198:                              ;   in Loop: Header=BB8_164 Depth=3
	s_or_b32 exec_lo, exec_lo, s7
.LBB8_199:                              ;   in Loop: Header=BB8_164 Depth=3
	s_delay_alu instid0(SALU_CYCLE_1) | instskip(NEXT) | instid1(VALU_DEP_1)
	s_or_b32 exec_lo, exec_lo, s6
	v_dual_mov_b32 v39, 0 :: v_dual_sub_f32 v17, v17, v6
	s_delay_alu instid0(VALU_DEP_1)
	v_dual_mov_b32 v38, v39 :: v_dual_mov_b32 v25, v39
	global_store_b32 v[32:33], v17, off
	s_wait_xcnt 0x0
	s_and_saveexec_b32 s36, s5
	s_cbranch_execz .LBB8_203
; %bb.200:                              ;   in Loop: Header=BB8_164 Depth=3
	v_dual_mov_b32 v17, 0 :: v_dual_mov_b32 v25, v28
	v_mov_b64_e32 v[40:41], v[20:21]
	v_mov_b32_e32 v38, 0
	s_mov_b32 s37, 0
	s_delay_alu instid0(VALU_DEP_3)
	v_mov_b32_e32 v39, v17
	s_mov_b64 s[6:7], s[62:63]
.LBB8_201:                              ;   Parent Loop BB8_4 Depth=1
                                        ;     Parent Loop BB8_71 Depth=2
                                        ;       Parent Loop BB8_164 Depth=3
                                        ; =>      This Inner Loop Header: Depth=4
	global_load_b32 v29, v[40:41], off
	s_wait_loadcnt 0x0
	v_dual_add_nc_u32 v25, -1, v25 :: v_dual_sub_f32 v29, v29, v6
	global_store_b32 v[40:41], v29, off
	global_load_b32 v43, v3, s[6:7]
	s_wait_xcnt 0x1
	v_add_nc_u64_e32 v[40:41], 4, v[40:41]
	s_wait_xcnt 0x0
	s_add_nc_u64 s[6:7], s[6:7], 4
	s_wait_loadcnt 0x0
	v_div_scale_f32 v36, null, v29, v29, v43
	v_div_scale_f32 v45, vcc_lo, v43, v29, v43
	s_delay_alu instid0(VALU_DEP_2) | instskip(SKIP_1) | instid1(TRANS32_DEP_1)
	v_rcp_f32_e32 v42, v36
	v_nop
	v_fma_f32 v44, -v36, v42, 1.0
	s_delay_alu instid0(VALU_DEP_1) | instskip(NEXT) | instid1(VALU_DEP_1)
	v_fmac_f32_e32 v42, v44, v42
	v_mul_f32_e32 v44, v45, v42
	s_delay_alu instid0(VALU_DEP_1) | instskip(NEXT) | instid1(VALU_DEP_1)
	v_fma_f32 v46, -v36, v44, v45
	v_fmac_f32_e32 v44, v46, v42
	s_delay_alu instid0(VALU_DEP_1) | instskip(NEXT) | instid1(VALU_DEP_1)
	v_fma_f32 v36, -v36, v44, v45
	v_div_fmas_f32 v36, v36, v42, v44
	v_cmp_eq_u32_e32 vcc_lo, 0, v25
	s_delay_alu instid0(VALU_DEP_2) | instskip(SKIP_1) | instid1(VALU_DEP_1)
	v_div_fixup_f32 v42, v36, v29, v43
	s_or_b32 s37, vcc_lo, s37
	v_pk_fma_f32 v[38:39], v[42:43], v[42:43], v[38:39] op_sel_hi:[1,0,1]
	s_delay_alu instid0(VALU_DEP_1)
	v_add_f32_e32 v17, v17, v39
	s_and_not1_b32 exec_lo, exec_lo, s37
	s_cbranch_execnz .LBB8_201
; %bb.202:                              ;   in Loop: Header=BB8_164 Depth=3
	s_or_b32 exec_lo, exec_lo, s37
	s_delay_alu instid0(VALU_DEP_1)
	v_and_b32_e32 v25, 0x7fffffff, v17
.LBB8_203:                              ;   in Loop: Header=BB8_164 Depth=3
	s_or_b32 exec_lo, exec_lo, s36
	v_mov_b32_e32 v41, 0
	s_delay_alu instid0(VALU_DEP_1)
	v_mov_b32_e32 v40, v41
	s_and_saveexec_b32 s36, s4
	s_cbranch_execz .LBB8_162
; %bb.204:                              ;   in Loop: Header=BB8_164 Depth=3
	v_mov_b32_e32 v40, 0
	v_mov_b64_e32 v[42:43], v[30:31]
	s_mov_b32 s37, 0
	s_mov_b64 s[6:7], s[80:81]
	s_mov_b32 s91, s70
	v_mov_b32_e32 v41, v40
.LBB8_205:                              ;   Parent Loop BB8_4 Depth=1
                                        ;     Parent Loop BB8_71 Depth=2
                                        ;       Parent Loop BB8_164 Depth=3
                                        ; =>      This Inner Loop Header: Depth=4
	global_load_b32 v17, v[42:43], off
	s_add_co_i32 s91, s91, -1
	s_wait_loadcnt 0x0
	v_sub_f32_e32 v17, v17, v6
	global_store_b32 v[42:43], v17, off
	global_load_b32 v45, v3, s[6:7]
	s_wait_xcnt 0x1
	v_add_nc_u64_e32 v[42:43], -4, v[42:43]
	s_wait_xcnt 0x0
	s_add_nc_u64 s[6:7], s[6:7], -4
	s_wait_loadcnt 0x0
	v_div_scale_f32 v29, null, v17, v17, v45
	s_delay_alu instid0(VALU_DEP_1) | instskip(SKIP_1) | instid1(TRANS32_DEP_1)
	v_rcp_f32_e32 v36, v29
	v_nop
	v_fma_f32 v44, -v29, v36, 1.0
	s_delay_alu instid0(VALU_DEP_1) | instskip(SKIP_1) | instid1(VALU_DEP_1)
	v_fmac_f32_e32 v36, v44, v36
	v_div_scale_f32 v46, vcc_lo, v45, v17, v45
	v_mul_f32_e32 v44, v46, v36
	s_delay_alu instid0(VALU_DEP_1) | instskip(NEXT) | instid1(VALU_DEP_1)
	v_fma_f32 v47, -v29, v44, v46
	v_fmac_f32_e32 v44, v47, v36
	s_delay_alu instid0(VALU_DEP_1) | instskip(NEXT) | instid1(VALU_DEP_1)
	v_fma_f32 v29, -v29, v44, v46
	v_div_fmas_f32 v29, v29, v36, v44
	v_cmp_le_i32_e32 vcc_lo, s91, v28
	s_delay_alu instid0(VALU_DEP_2) | instskip(SKIP_1) | instid1(VALU_DEP_1)
	v_div_fixup_f32 v44, v29, v17, v45
	s_or_b32 s37, vcc_lo, s37
	v_pk_fma_f32 v[40:41], v[44:45], v[44:45], v[40:41] op_sel_hi:[1,0,1]
	s_delay_alu instid0(VALU_DEP_1)
	v_add_f32_e32 v25, v25, v41
	s_and_not1_b32 exec_lo, exec_lo, s37
	s_cbranch_execnz .LBB8_205
; %bb.206:                              ;   in Loop: Header=BB8_164 Depth=3
	s_or_b32 exec_lo, exec_lo, s37
	s_branch .LBB8_162
.LBB8_207:                              ;   in Loop: Header=BB8_71 Depth=2
	s_or_b32 exec_lo, exec_lo, s18
	v_add_f32_e32 v17, v24, v11
.LBB8_208:                              ;   in Loop: Header=BB8_71 Depth=2
	s_or_b32 exec_lo, exec_lo, s46
                                        ; implicit-def: $vgpr20_vgpr21
                                        ; implicit-def: $vgpr30_vgpr31
                                        ; implicit-def: $vgpr36_vgpr37
	s_and_not1_saveexec_b32 s5, s89
	s_cbranch_execz .LBB8_80
.LBB8_209:                              ;   in Loop: Header=BB8_71 Depth=2
	v_lshl_add_u64 v[24:25], s[70:71], 2, v[36:37]
	v_lshl_add_u64 v[26:27], s[72:73], 2, v[36:37]
	s_and_not1_b32 vcc_lo, exec_lo, s102
	v_mov_b32_e32 v2, 0
	s_clause 0x1
	global_load_b32 v22, v[24:25], off
	global_load_b32 v6, v[26:27], off
	s_wait_loadcnt 0x1
	v_add_f32_e32 v8, v56, v22
	s_cbranch_vccnz .LBB8_212
; %bb.210:                              ;   in Loop: Header=BB8_71 Depth=2
	v_mov_b64_e32 v[28:29], v[20:21]
	v_mov_b32_e32 v2, 0
	s_mov_b64 s[2:3], s[62:63]
	s_mov_b32 s4, s72
.LBB8_211:                              ;   Parent Loop BB8_4 Depth=1
                                        ;     Parent Loop BB8_71 Depth=2
                                        ; =>    This Inner Loop Header: Depth=3
	global_load_b32 v11, v[28:29], off
	global_load_b32 v13, v3, s[2:3]
	s_wait_xcnt 0x1
	v_add_nc_u64_e32 v[28:29], 4, v[28:29]
	s_add_co_i32 s4, s4, -1
	s_wait_xcnt 0x0
	s_add_nc_u64 s[2:3], s[2:3], 4
	s_cmp_lg_u32 s4, 0
	s_wait_loadcnt 0x1
	v_sub_f32_e32 v11, v11, v8
	s_wait_loadcnt 0x0
	s_delay_alu instid0(VALU_DEP_1) | instskip(SKIP_1) | instid1(VALU_DEP_2)
	v_div_scale_f32 v14, null, v11, v11, v13
	v_div_scale_f32 v32, vcc_lo, v13, v11, v13
	v_rcp_f32_e32 v17, v14
	v_nop
	s_delay_alu instid0(TRANS32_DEP_1) | instskip(NEXT) | instid1(VALU_DEP_1)
	v_fma_f32 v23, -v14, v17, 1.0
	v_fmac_f32_e32 v17, v23, v17
	s_delay_alu instid0(VALU_DEP_1) | instskip(NEXT) | instid1(VALU_DEP_1)
	v_mul_f32_e32 v23, v32, v17
	v_fma_f32 v33, -v14, v23, v32
	s_delay_alu instid0(VALU_DEP_1) | instskip(NEXT) | instid1(VALU_DEP_1)
	v_fmac_f32_e32 v23, v33, v17
	v_fma_f32 v14, -v14, v23, v32
	s_delay_alu instid0(VALU_DEP_1) | instskip(NEXT) | instid1(VALU_DEP_1)
	v_div_fmas_f32 v14, v14, v17, v23
	v_div_fixup_f32 v11, v14, v11, v13
	s_delay_alu instid0(VALU_DEP_1)
	v_fmac_f32_e32 v2, v13, v11
	s_cbranch_scc1 .LBB8_211
.LBB8_212:                              ;   in Loop: Header=BB8_71 Depth=2
	s_clause 0x1
	global_load_b32 v28, v3, s[74:75]
	global_load_b32 v29, v3, s[76:77]
	s_wait_loadcnt 0x2
	v_sub_f32_e32 v11, v6, v8
	s_wait_loadcnt 0x0
	v_pk_mul_f32 v[28:29], v[28:29], v[28:29]
	s_delay_alu instid0(VALU_DEP_1) | instskip(SKIP_1) | instid1(VALU_DEP_2)
	v_div_scale_f32 v8, null, v11, v11, v28
	v_div_scale_f32 v17, vcc_lo, v28, v11, v28
	v_rcp_f32_e32 v13, v8
	v_nop
	s_delay_alu instid0(TRANS32_DEP_1) | instskip(NEXT) | instid1(VALU_DEP_1)
	v_fma_f32 v14, -v8, v13, 1.0
	v_fmac_f32_e32 v13, v14, v13
	s_delay_alu instid0(VALU_DEP_1) | instskip(NEXT) | instid1(VALU_DEP_1)
	v_mul_f32_e32 v14, v17, v13
	v_fma_f32 v23, -v8, v14, v17
	s_delay_alu instid0(VALU_DEP_1) | instskip(NEXT) | instid1(VALU_DEP_1)
	v_fmac_f32_e32 v14, v23, v13
	v_fma_f32 v17, -v8, v14, v17
	v_add_f32_e32 v8, v12, v2
	s_delay_alu instid0(VALU_DEP_1) | instskip(NEXT) | instid1(VALU_DEP_3)
	v_add_f32_e32 v2, 0, v8
	v_div_fmas_f32 v13, v17, v13, v14
	s_delay_alu instid0(VALU_DEP_1) | instskip(NEXT) | instid1(VALU_DEP_1)
	v_div_fixup_f32 v11, v13, v11, v28
	v_dual_add_f32 v14, v29, v29 :: v_dual_add_f32 v11, v2, v11
	s_delay_alu instid0(VALU_DEP_1) | instskip(NEXT) | instid1(VALU_DEP_1)
	v_mul_f32_e32 v13, v12, v14
	v_cmp_ngt_f32_e32 vcc_lo, v11, v13
	v_sub_f32_e32 v13, v22, v6
                                        ; implicit-def: $vgpr6
	s_wait_xcnt 0x0
	s_and_saveexec_b32 s2, vcc_lo
	s_delay_alu instid0(SALU_CYCLE_1)
	s_xor_b32 s3, exec_lo, s2
	s_cbranch_execz .LBB8_220
; %bb.213:                              ;   in Loop: Header=BB8_71 Depth=2
	v_add_f32_e32 v6, v55, v13
	v_div_scale_f32 v11, null, v55, v55, v29
	v_div_scale_f32 v34, vcc_lo, v29, v55, v29
	s_delay_alu instid0(VALU_DEP_3) | instskip(NEXT) | instid1(VALU_DEP_3)
	v_div_scale_f32 v14, null, v6, v6, v28
	v_rcp_f32_e32 v17, v11
	s_delay_alu instid0(VALU_DEP_1) | instskip(NEXT) | instid1(TRANS32_DEP_2)
	v_rcp_f32_e32 v23, v14
	v_fma_f32 v32, -v11, v17, 1.0
	s_delay_alu instid0(TRANS32_DEP_1) | instskip(NEXT) | instid1(VALU_DEP_1)
	v_fma_f32 v33, -v14, v23, 1.0
	v_dual_fmac_f32 v23, v33, v23 :: v_dual_fmac_f32 v17, v32, v17
	v_div_scale_f32 v32, s2, v28, v6, v28
	s_delay_alu instid0(VALU_DEP_1) | instskip(NEXT) | instid1(VALU_DEP_1)
	v_mul_f32_e32 v35, v32, v23
	v_fma_f32 v37, -v14, v35, v32
	s_delay_alu instid0(VALU_DEP_1) | instskip(NEXT) | instid1(VALU_DEP_1)
	v_dual_mul_f32 v33, v34, v17 :: v_dual_fmac_f32 v35, v37, v23
	v_dual_fma_f32 v36, -v11, v33, v34 :: v_dual_fma_f32 v14, -v14, v35, v32
	s_delay_alu instid0(VALU_DEP_1) | instskip(NEXT) | instid1(VALU_DEP_1)
	v_fmac_f32_e32 v33, v36, v17
	v_fma_f32 v11, -v11, v33, v34
	s_delay_alu instid0(VALU_DEP_1) | instskip(SKIP_2) | instid1(VALU_DEP_2)
	v_div_fmas_f32 v11, v11, v17, v33
	s_mov_b32 vcc_lo, s2
	v_div_fmas_f32 v14, v14, v23, v35
	v_div_fixup_f32 v11, v11, v55, v29
	s_delay_alu instid0(VALU_DEP_2) | instskip(NEXT) | instid1(VALU_DEP_1)
	v_div_fixup_f32 v6, v14, v6, v28
	v_add_f32_e32 v6, v6, v11
	s_delay_alu instid0(VALU_DEP_1)
	v_cmp_nle_f32_e32 vcc_lo, v8, v6
	v_mov_b32_e32 v6, v55
	s_and_saveexec_b32 s4, vcc_lo
	s_cbranch_execz .LBB8_219
; %bb.214:                              ;   in Loop: Header=BB8_71 Depth=2
	v_dual_mul_f32 v8, v13, v29 :: v_dual_fma_f32 v6, -v13, v2, v28
	s_delay_alu instid0(VALU_DEP_1) | instskip(NEXT) | instid1(VALU_DEP_1)
	v_dual_mul_f32 v13, 4.0, v8 :: v_dual_add_f32 v11, v29, v6
	v_mul_f32_e32 v6, v2, v13
	s_delay_alu instid0(VALU_DEP_1) | instskip(NEXT) | instid1(VALU_DEP_1)
	v_fmac_f32_e32 v6, v11, v11
	v_mul_f32_e32 v13, 0x4f800000, v6
	v_cmp_gt_f32_e32 vcc_lo, 0xf800000, v6
	s_delay_alu instid0(VALU_DEP_2) | instskip(NEXT) | instid1(VALU_DEP_1)
	v_cndmask_b32_e32 v6, v6, v13, vcc_lo
	v_sqrt_f32_e32 v13, v6
	v_nop
	s_delay_alu instid0(TRANS32_DEP_1) | instskip(NEXT) | instid1(VALU_DEP_1)
	v_dual_add_nc_u32 v14, -1, v13 :: v_dual_add_nc_u32 v17, 1, v13
	v_dual_fma_f32 v23, -v14, v13, v6 :: v_dual_fma_f32 v28, -v17, v13, v6
	s_delay_alu instid0(VALU_DEP_1) | instskip(NEXT) | instid1(VALU_DEP_1)
	v_cmp_ge_f32_e64 s2, 0, v23
	v_cndmask_b32_e64 v13, v13, v14, s2
	s_delay_alu instid0(VALU_DEP_3) | instskip(NEXT) | instid1(VALU_DEP_1)
	v_cmp_lt_f32_e64 s2, 0, v28
	v_cndmask_b32_e64 v13, v13, v17, s2
	s_mov_b32 s2, exec_lo
	s_delay_alu instid0(VALU_DEP_1) | instskip(NEXT) | instid1(VALU_DEP_1)
	v_mul_f32_e32 v14, 0x37800000, v13
	v_cndmask_b32_e32 v13, v13, v14, vcc_lo
	v_cmp_class_f32_e64 vcc_lo, v6, 0x260
	s_delay_alu instid0(VALU_DEP_2)
	v_cndmask_b32_e32 v13, v13, v6, vcc_lo
                                        ; implicit-def: $vgpr6
	v_cmpx_ngt_f32_e32 0, v11
	s_xor_b32 s2, exec_lo, s2
	s_cbranch_execz .LBB8_216
; %bb.215:                              ;   in Loop: Header=BB8_71 Depth=2
	s_delay_alu instid0(VALU_DEP_2) | instskip(NEXT) | instid1(VALU_DEP_1)
	v_dual_add_f32 v6, v11, v13 :: v_dual_add_f32 v2, v2, v2
	v_div_scale_f32 v8, null, v2, v2, v6
	s_delay_alu instid0(VALU_DEP_1) | instskip(SKIP_1) | instid1(TRANS32_DEP_1)
	v_rcp_f32_e32 v11, v8
	v_nop
	v_fma_f32 v13, -v8, v11, 1.0
	s_delay_alu instid0(VALU_DEP_1) | instskip(SKIP_1) | instid1(VALU_DEP_1)
	v_fmac_f32_e32 v11, v13, v11
	v_div_scale_f32 v13, vcc_lo, v6, v2, v6
	v_mul_f32_e32 v14, v13, v11
	s_delay_alu instid0(VALU_DEP_1) | instskip(NEXT) | instid1(VALU_DEP_1)
	v_fma_f32 v17, -v8, v14, v13
	v_fmac_f32_e32 v14, v17, v11
	s_delay_alu instid0(VALU_DEP_1) | instskip(NEXT) | instid1(VALU_DEP_1)
	v_fma_f32 v8, -v8, v14, v13
                                        ; implicit-def: $vgpr13
	v_div_fmas_f32 v8, v8, v11, v14
                                        ; implicit-def: $vgpr11
	s_delay_alu instid0(VALU_DEP_1)
	v_div_fixup_f32 v6, v8, v2, v6
                                        ; implicit-def: $vgpr8
.LBB8_216:                              ;   in Loop: Header=BB8_71 Depth=2
	s_and_not1_saveexec_b32 s2, s2
	s_cbranch_execz .LBB8_218
; %bb.217:                              ;   in Loop: Header=BB8_71 Depth=2
	v_dual_add_f32 v2, v8, v8 :: v_dual_sub_f32 v6, v13, v11
	s_delay_alu instid0(VALU_DEP_1) | instskip(NEXT) | instid1(VALU_DEP_1)
	v_div_scale_f32 v8, null, v6, v6, v2
	v_rcp_f32_e32 v11, v8
	v_nop
	s_delay_alu instid0(TRANS32_DEP_1) | instskip(NEXT) | instid1(VALU_DEP_1)
	v_fma_f32 v13, -v8, v11, 1.0
	v_fmac_f32_e32 v11, v13, v11
	v_div_scale_f32 v13, vcc_lo, v2, v6, v2
	s_delay_alu instid0(VALU_DEP_1) | instskip(NEXT) | instid1(VALU_DEP_1)
	v_mul_f32_e32 v14, v13, v11
	v_fma_f32 v17, -v8, v14, v13
	s_delay_alu instid0(VALU_DEP_1) | instskip(NEXT) | instid1(VALU_DEP_1)
	v_fmac_f32_e32 v14, v17, v11
	v_fma_f32 v8, -v8, v14, v13
	s_delay_alu instid0(VALU_DEP_1) | instskip(NEXT) | instid1(VALU_DEP_1)
	v_div_fmas_f32 v8, v8, v11, v14
	v_div_fixup_f32 v6, v8, v6, v2
.LBB8_218:                              ;   in Loop: Header=BB8_71 Depth=2
	s_or_b32 exec_lo, exec_lo, s2
.LBB8_219:                              ;   in Loop: Header=BB8_71 Depth=2
	s_delay_alu instid0(SALU_CYCLE_1)
	s_or_b32 exec_lo, exec_lo, s4
                                        ; implicit-def: $vgpr13
                                        ; implicit-def: $vgpr2
                                        ; implicit-def: $vgpr28_vgpr29
.LBB8_220:                              ;   in Loop: Header=BB8_71 Depth=2
	s_or_saveexec_b32 s3, s3
	v_dual_mov_b32 v8, v56 :: v_dual_mov_b32 v11, v55
	s_xor_b32 exec_lo, exec_lo, s3
	s_cbranch_execz .LBB8_226
; %bb.221:                              ;   in Loop: Header=BB8_71 Depth=2
	v_dual_mul_f32 v8, v13, v29 :: v_dual_fma_f32 v6, -v13, v2, v28
	s_delay_alu instid0(VALU_DEP_1) | instskip(NEXT) | instid1(VALU_DEP_1)
	v_dual_mul_f32 v13, 4.0, v8 :: v_dual_add_f32 v11, v29, v6
	v_mul_f32_e32 v6, v2, v13
	s_delay_alu instid0(VALU_DEP_1) | instskip(NEXT) | instid1(VALU_DEP_1)
	v_fmac_f32_e32 v6, v11, v11
	v_mul_f32_e32 v13, 0x4f800000, v6
	v_cmp_gt_f32_e32 vcc_lo, 0xf800000, v6
	s_delay_alu instid0(VALU_DEP_2) | instskip(NEXT) | instid1(VALU_DEP_1)
	v_cndmask_b32_e32 v6, v6, v13, vcc_lo
	v_sqrt_f32_e32 v13, v6
	v_nop
	s_delay_alu instid0(TRANS32_DEP_1) | instskip(NEXT) | instid1(VALU_DEP_1)
	v_dual_add_nc_u32 v14, -1, v13 :: v_dual_add_nc_u32 v17, 1, v13
	v_dual_fma_f32 v23, -v14, v13, v6 :: v_dual_fma_f32 v28, -v17, v13, v6
	s_delay_alu instid0(VALU_DEP_1) | instskip(NEXT) | instid1(VALU_DEP_1)
	v_cmp_ge_f32_e64 s2, 0, v23
	v_cndmask_b32_e64 v13, v13, v14, s2
	s_delay_alu instid0(VALU_DEP_3) | instskip(NEXT) | instid1(VALU_DEP_1)
	v_cmp_lt_f32_e64 s2, 0, v28
	v_cndmask_b32_e64 v13, v13, v17, s2
	s_mov_b32 s2, exec_lo
	s_delay_alu instid0(VALU_DEP_1) | instskip(NEXT) | instid1(VALU_DEP_1)
	v_mul_f32_e32 v14, 0x37800000, v13
	v_cndmask_b32_e32 v13, v13, v14, vcc_lo
	v_cmp_class_f32_e64 vcc_lo, v6, 0x260
	s_delay_alu instid0(VALU_DEP_2)
	v_cndmask_b32_e32 v13, v13, v6, vcc_lo
                                        ; implicit-def: $vgpr6
	v_cmpx_ngt_f32_e32 0, v11
	s_xor_b32 s2, exec_lo, s2
	s_cbranch_execz .LBB8_223
; %bb.222:                              ;   in Loop: Header=BB8_71 Depth=2
	s_delay_alu instid0(VALU_DEP_2) | instskip(NEXT) | instid1(VALU_DEP_1)
	v_dual_add_f32 v6, v11, v13 :: v_dual_add_f32 v2, v2, v2
	v_div_scale_f32 v8, null, v2, v2, v6
	s_delay_alu instid0(VALU_DEP_1) | instskip(SKIP_1) | instid1(TRANS32_DEP_1)
	v_rcp_f32_e32 v11, v8
	v_nop
	v_fma_f32 v13, -v8, v11, 1.0
	s_delay_alu instid0(VALU_DEP_1) | instskip(SKIP_1) | instid1(VALU_DEP_1)
	v_fmac_f32_e32 v11, v13, v11
	v_div_scale_f32 v13, vcc_lo, v6, v2, v6
	v_mul_f32_e32 v14, v13, v11
	s_delay_alu instid0(VALU_DEP_1) | instskip(NEXT) | instid1(VALU_DEP_1)
	v_fma_f32 v17, -v8, v14, v13
	v_fmac_f32_e32 v14, v17, v11
	s_delay_alu instid0(VALU_DEP_1) | instskip(NEXT) | instid1(VALU_DEP_1)
	v_fma_f32 v8, -v8, v14, v13
                                        ; implicit-def: $vgpr13
	v_div_fmas_f32 v8, v8, v11, v14
                                        ; implicit-def: $vgpr11
	s_delay_alu instid0(VALU_DEP_1)
	v_div_fixup_f32 v6, v8, v2, v6
                                        ; implicit-def: $vgpr8
.LBB8_223:                              ;   in Loop: Header=BB8_71 Depth=2
	s_and_not1_saveexec_b32 s2, s2
	s_cbranch_execz .LBB8_225
; %bb.224:                              ;   in Loop: Header=BB8_71 Depth=2
	v_dual_add_f32 v2, v8, v8 :: v_dual_sub_f32 v6, v13, v11
	s_delay_alu instid0(VALU_DEP_1) | instskip(NEXT) | instid1(VALU_DEP_1)
	v_div_scale_f32 v8, null, v6, v6, v2
	v_rcp_f32_e32 v11, v8
	v_nop
	s_delay_alu instid0(TRANS32_DEP_1) | instskip(NEXT) | instid1(VALU_DEP_1)
	v_fma_f32 v13, -v8, v11, 1.0
	v_fmac_f32_e32 v11, v13, v11
	v_div_scale_f32 v13, vcc_lo, v2, v6, v2
	s_delay_alu instid0(VALU_DEP_1) | instskip(NEXT) | instid1(VALU_DEP_1)
	v_mul_f32_e32 v14, v13, v11
	v_fma_f32 v17, -v8, v14, v13
	s_delay_alu instid0(VALU_DEP_1) | instskip(NEXT) | instid1(VALU_DEP_1)
	v_fmac_f32_e32 v14, v17, v11
	v_fma_f32 v8, -v8, v14, v13
	s_delay_alu instid0(VALU_DEP_1) | instskip(NEXT) | instid1(VALU_DEP_1)
	v_div_fmas_f32 v8, v8, v11, v14
	v_div_fixup_f32 v6, v8, v6, v2
.LBB8_225:                              ;   in Loop: Header=BB8_71 Depth=2
	s_or_b32 exec_lo, exec_lo, s2
	v_dual_mov_b32 v8, 0 :: v_dual_mov_b32 v11, v56
.LBB8_226:                              ;   in Loop: Header=BB8_71 Depth=2
	s_or_b32 exec_lo, exec_lo, s3
	v_mov_b32_e32 v2, v22
	s_and_not1_b32 vcc_lo, exec_lo, s103
	s_cbranch_vccnz .LBB8_235
; %bb.227:                              ;   in Loop: Header=BB8_71 Depth=2
	s_and_not1_b32 vcc_lo, exec_lo, s104
	s_cbranch_vccnz .LBB8_231
; %bb.228:                              ;   in Loop: Header=BB8_71 Depth=2
	v_mov_b64_e32 v[28:29], v[20:21]
	v_mov_b32_e32 v23, v22
	s_mov_b32 s2, vcc_hi
.LBB8_229:                              ;   Parent Loop BB8_4 Depth=1
                                        ;     Parent Loop BB8_71 Depth=2
                                        ; =>    This Inner Loop Header: Depth=3
	global_load_b64 v[32:33], v[28:29], off
	s_add_co_i32 s2, s2, -2
	s_mov_b32 s18, vcc_hi
	s_cmp_lg_u32 s2, 0
	s_mov_b32 s3, s93
	s_wait_loadcnt 0x0
	v_pk_add_f32 v[32:33], v[32:33], v[22:23] neg_lo:[0,1] neg_hi:[0,1]
	global_store_b64 v[28:29], v[32:33], off
	s_wait_xcnt 0x0
	v_add_nc_u64_e32 v[28:29], 8, v[28:29]
	s_cbranch_scc1 .LBB8_229
; %bb.230:                              ;   in Loop: Header=BB8_71 Depth=2
	s_and_b32 vcc_lo, exec_lo, s3
	s_cbranch_vccnz .LBB8_232
	s_branch .LBB8_234
.LBB8_231:                              ;   in Loop: Header=BB8_71 Depth=2
	s_mov_b32 s18, 0
	s_cbranch_execz .LBB8_234
.LBB8_232:                              ;   in Loop: Header=BB8_71 Depth=2
	s_lshl_b64 s[2:3], s[18:19], 2
	s_delay_alu instid0(SALU_CYCLE_1) | instskip(NEXT) | instid1(SALU_CYCLE_1)
	s_add_nc_u64 s[2:3], s[60:61], s[2:3]
	v_add_nc_u64_e32 v[28:29], s[2:3], v[30:31]
	s_sub_co_i32 s2, s70, s18
.LBB8_233:                              ;   Parent Loop BB8_4 Depth=1
                                        ;     Parent Loop BB8_71 Depth=2
                                        ; =>    This Inner Loop Header: Depth=3
	global_load_b32 v2, v[28:29], off
	s_add_co_i32 s2, s2, -1
	s_delay_alu instid0(SALU_CYCLE_1)
	s_cmp_eq_u32 s2, 0
	s_wait_loadcnt 0x0
	v_sub_f32_e32 v2, v2, v22
	global_store_b32 v[28:29], v2, off
	s_wait_xcnt 0x0
	v_add_nc_u64_e32 v[28:29], 4, v[28:29]
	s_cbranch_scc0 .LBB8_233
.LBB8_234:                              ;   in Loop: Header=BB8_71 Depth=2
	global_load_b32 v2, v[24:25], off
.LBB8_235:                              ;   in Loop: Header=BB8_71 Depth=2
	s_wait_loadcnt 0x0
	s_delay_alu instid0(VALU_DEP_1) | instskip(SKIP_1) | instid1(VALU_DEP_1)
	v_dual_mov_b32 v35, 0 :: v_dual_sub_f32 v13, v2, v22
	s_and_not1_b32 vcc_lo, exec_lo, s103
	v_dual_mov_b32 v34, v35 :: v_dual_mov_b32 v14, v35
	global_store_b32 v[24:25], v13, off
	s_cbranch_vccnz .LBB8_239
; %bb.236:                              ;   in Loop: Header=BB8_71 Depth=2
	v_dual_mov_b32 v2, 0 :: v_dual_mov_b32 v34, 0
	v_mov_b64_e32 v[28:29], v[20:21]
	s_mov_b64 s[2:3], s[62:63]
	s_mov_b32 s4, s70
	s_delay_alu instid0(VALU_DEP_2)
	v_mov_b32_e32 v35, v2
.LBB8_237:                              ;   Parent Loop BB8_4 Depth=1
                                        ;     Parent Loop BB8_71 Depth=2
                                        ; =>    This Inner Loop Header: Depth=3
	global_load_b32 v13, v[28:29], off
	s_add_co_i32 s4, s4, -1
	s_delay_alu instid0(SALU_CYCLE_1)
	s_cmp_eq_u32 s4, 0
	s_wait_loadcnt 0x0
	v_sub_f32_e32 v13, v13, v6
	global_store_b32 v[28:29], v13, off
	global_load_b32 v30, v3, s[2:3]
	s_wait_xcnt 0x1
	v_add_nc_u64_e32 v[28:29], 4, v[28:29]
	s_wait_xcnt 0x0
	s_add_nc_u64 s[2:3], s[2:3], 4
	s_wait_loadcnt 0x0
	v_div_scale_f32 v14, null, v13, v13, v30
	s_delay_alu instid0(VALU_DEP_1) | instskip(SKIP_1) | instid1(TRANS32_DEP_1)
	v_rcp_f32_e32 v17, v14
	v_nop
	v_fma_f32 v23, -v14, v17, 1.0
	s_delay_alu instid0(VALU_DEP_1) | instskip(SKIP_1) | instid1(VALU_DEP_1)
	v_fmac_f32_e32 v17, v23, v17
	v_div_scale_f32 v31, vcc_lo, v30, v13, v30
	v_mul_f32_e32 v23, v31, v17
	s_delay_alu instid0(VALU_DEP_1) | instskip(NEXT) | instid1(VALU_DEP_1)
	v_fma_f32 v32, -v14, v23, v31
	v_fmac_f32_e32 v23, v32, v17
	s_delay_alu instid0(VALU_DEP_1) | instskip(NEXT) | instid1(VALU_DEP_1)
	v_fma_f32 v14, -v14, v23, v31
	v_div_fmas_f32 v14, v14, v17, v23
	s_delay_alu instid0(VALU_DEP_1) | instskip(NEXT) | instid1(VALU_DEP_1)
	v_div_fixup_f32 v31, v14, v13, v30
	v_mov_b32_e32 v14, v31
	s_delay_alu instid0(VALU_DEP_1) | instskip(NEXT) | instid1(VALU_DEP_1)
	v_pk_fma_f32 v[34:35], v[30:31], v[14:15], v[34:35] op_sel_hi:[1,0,1]
	v_add_f32_e32 v2, v2, v34
	s_cbranch_scc0 .LBB8_237
; %bb.238:                              ;   in Loop: Header=BB8_71 Depth=2
	global_load_b32 v13, v[24:25], off
	v_and_b32_e32 v14, 0x7fffffff, v2
.LBB8_239:                              ;   in Loop: Header=BB8_71 Depth=2
	s_wait_loadcnt 0x0
	v_sub_f32_e32 v28, v13, v6
	v_and_b32_e32 v39, 0x7fffffff, v6
	s_mov_b32 s6, exec_lo
	global_store_b32 v[24:25], v28, off
	global_load_b32 v13, v3, s[76:77]
	s_wait_loadcnt 0x0
	v_div_scale_f32 v2, null, v28, v28, v13
	s_delay_alu instid0(VALU_DEP_1) | instskip(SKIP_1) | instid1(TRANS32_DEP_1)
	v_rcp_f32_e32 v17, v2
	v_nop
	v_fma_f32 v23, -v2, v17, 1.0
	s_delay_alu instid0(VALU_DEP_1) | instskip(SKIP_1) | instid1(VALU_DEP_1)
	v_fmac_f32_e32 v17, v23, v17
	v_div_scale_f32 v29, vcc_lo, v13, v28, v13
	v_mul_f32_e32 v23, v29, v17
	s_delay_alu instid0(VALU_DEP_1) | instskip(NEXT) | instid1(VALU_DEP_1)
	v_fma_f32 v30, -v2, v23, v29
	v_fmac_f32_e32 v23, v30, v17
	s_delay_alu instid0(VALU_DEP_1) | instskip(NEXT) | instid1(VALU_DEP_1)
	v_fma_f32 v2, -v2, v23, v29
	v_div_fmas_f32 v2, v2, v17, v23
	s_delay_alu instid0(VALU_DEP_1) | instskip(NEXT) | instid1(VALU_DEP_1)
	v_div_fixup_f32 v17, v2, v28, v13
	v_dual_mov_b32 v2, v34 :: v_dual_mul_f32 v13, v13, v17
	s_delay_alu instid0(VALU_DEP_1) | instskip(SKIP_1) | instid1(VALU_DEP_2)
	v_pk_add_f32 v[30:31], v[12:13], v[2:3]
	v_mul_f32_e32 v37, v17, v17
	v_dual_mov_b32 v38, v9 :: v_dual_mov_b32 v36, v31
	s_delay_alu instid0(VALU_DEP_1) | instskip(NEXT) | instid1(VALU_DEP_1)
	v_pk_add_f32 v[32:33], v[34:35], v[36:37]
	v_pk_mul_f32 v[38:39], v[38:39], v[32:33]
	s_delay_alu instid0(VALU_DEP_1) | instskip(NEXT) | instid1(VALU_DEP_1)
	v_sub_f32_e32 v2, v39, v38
	v_pk_add_f32 v[38:39], v[2:3], v[30:31] op_sel_hi:[0,1] neg_lo:[0,1] neg_hi:[0,1]
	v_dual_mov_b32 v38, v31 :: v_dual_mov_b32 v2, v31
	s_delay_alu instid0(VALU_DEP_1) | instskip(NEXT) | instid1(VALU_DEP_2)
	v_pk_add_f32 v[38:39], v[14:15], v[38:39]
	v_pk_add_f32 v[30:31], v[30:31], v[2:3]
	s_delay_alu instid0(VALU_DEP_2) | instskip(NEXT) | instid1(VALU_DEP_1)
	v_add_f32_e32 v13, v38, v39
	v_mul_f32_e32 v2, s82, v13
	s_wait_xcnt 0x0
	s_delay_alu instid0(VALU_DEP_1)
	v_cmpx_nle_f32_e64 |v30|, v2
	s_cbranch_execz .LBB8_281
; %bb.240:                              ;   in Loop: Header=BB8_71 Depth=2
	global_load_b32 v34, v[26:27], off
	v_cmp_lt_f32_e64 s2, 0, v30
	v_cmp_lt_f32_e64 s3, v6, v11
                                        ; implicit-def: $vgpr23
	s_mov_b32 s4, exec_lo
	s_wait_loadcnt 0x0
	v_fma_f32 v2, -v35, v34, v30
	s_delay_alu instid0(VALU_DEP_1) | instskip(SKIP_1) | instid1(VALU_DEP_1)
	v_fma_f32 v2, -v28, v37, v2
	s_wait_xcnt 0x0
	v_cmpx_neq_f32_e32 0, v2
	s_xor_b32 s7, exec_lo, s4
	s_cbranch_execz .LBB8_246
; %bb.241:                              ;   in Loop: Header=BB8_71 Depth=2
	v_dual_add_f32 v35, v28, v34 :: v_dual_mov_b32 v29, v30
	s_delay_alu instid0(VALU_DEP_1) | instskip(NEXT) | instid1(VALU_DEP_1)
	v_pk_mul_f32 v[34:35], v[28:29], v[34:35]
	v_fma_f32 v13, -v33, v34, v35
	s_delay_alu instid0(VALU_DEP_1) | instskip(NEXT) | instid1(VALU_DEP_1)
	v_dual_mul_f32 v14, v34, v30 :: v_dual_mul_f32 v17, v13, v13
	v_mul_f32_e32 v23, -4.0, v14
	s_delay_alu instid0(VALU_DEP_1) | instskip(NEXT) | instid1(VALU_DEP_1)
	v_fma_f32 v17, v23, |v2|, v17
	v_mul_f32_e64 v23, 0x4f800000, |v17|
	v_cmp_gt_f32_e64 vcc_lo, 0xf800000, |v17|
	s_delay_alu instid0(VALU_DEP_1) | instskip(NEXT) | instid1(VALU_DEP_1)
	v_cndmask_b32_e64 v17, |v17|, v23, vcc_lo
	v_sqrt_f32_e32 v23, v17
	v_nop
	s_delay_alu instid0(TRANS32_DEP_1) | instskip(NEXT) | instid1(VALU_DEP_1)
	v_dual_add_nc_u32 v29, -1, v23 :: v_dual_add_nc_u32 v31, 1, v23
	v_dual_fma_f32 v32, -v29, v23, v17 :: v_dual_fma_f32 v34, -v31, v23, v17
	s_delay_alu instid0(VALU_DEP_1) | instskip(NEXT) | instid1(VALU_DEP_1)
	v_cmp_ge_f32_e64 s4, 0, v32
	v_cndmask_b32_e64 v23, v23, v29, s4
	s_delay_alu instid0(VALU_DEP_3) | instskip(NEXT) | instid1(VALU_DEP_1)
	v_cmp_lt_f32_e64 s4, 0, v34
	v_cndmask_b32_e64 v23, v23, v31, s4
	s_mov_b32 s4, exec_lo
	s_delay_alu instid0(VALU_DEP_1) | instskip(NEXT) | instid1(VALU_DEP_1)
	v_mul_f32_e32 v29, 0x37800000, v23
	v_cndmask_b32_e32 v23, v23, v29, vcc_lo
	v_cmp_class_f32_e64 vcc_lo, v17, 0x260
	s_delay_alu instid0(VALU_DEP_2)
	v_cndmask_b32_e32 v17, v23, v17, vcc_lo
                                        ; implicit-def: $vgpr23
	v_cmpx_le_f32_e32 0, v13
	s_xor_b32 s4, exec_lo, s4
	s_cbranch_execz .LBB8_243
; %bb.242:                              ;   in Loop: Header=BB8_71 Depth=2
	s_delay_alu instid0(VALU_DEP_2) | instskip(SKIP_1) | instid1(VALU_DEP_1)
	v_add_f32_e32 v13, v13, v17
	v_add_f32_e64 v2, |v2|, |v2|
	v_div_scale_f32 v14, null, v2, v2, v13
	s_delay_alu instid0(VALU_DEP_1) | instskip(SKIP_1) | instid1(TRANS32_DEP_1)
	v_rcp_f32_e32 v17, v14
	v_nop
	v_fma_f32 v23, -v14, v17, 1.0
	s_delay_alu instid0(VALU_DEP_1) | instskip(SKIP_1) | instid1(VALU_DEP_1)
	v_fmac_f32_e32 v17, v23, v17
	v_div_scale_f32 v23, vcc_lo, v13, v2, v13
	v_mul_f32_e32 v29, v23, v17
	s_delay_alu instid0(VALU_DEP_1) | instskip(NEXT) | instid1(VALU_DEP_1)
	v_fma_f32 v31, -v14, v29, v23
	v_fmac_f32_e32 v29, v31, v17
	s_delay_alu instid0(VALU_DEP_1) | instskip(NEXT) | instid1(VALU_DEP_1)
	v_fma_f32 v14, -v14, v29, v23
	v_div_fmas_f32 v14, v14, v17, v29
                                        ; implicit-def: $vgpr17
	s_delay_alu instid0(VALU_DEP_1)
	v_div_fixup_f32 v23, v14, v2, v13
                                        ; implicit-def: $vgpr14
                                        ; implicit-def: $vgpr13
.LBB8_243:                              ;   in Loop: Header=BB8_71 Depth=2
	s_and_not1_saveexec_b32 s4, s4
	s_cbranch_execz .LBB8_245
; %bb.244:                              ;   in Loop: Header=BB8_71 Depth=2
	v_dual_add_f32 v2, v14, v14 :: v_dual_sub_f32 v13, v13, v17
	s_delay_alu instid0(VALU_DEP_1) | instskip(NEXT) | instid1(VALU_DEP_1)
	v_div_scale_f32 v14, null, v13, v13, v2
	v_rcp_f32_e32 v17, v14
	v_nop
	s_delay_alu instid0(TRANS32_DEP_1) | instskip(NEXT) | instid1(VALU_DEP_1)
	v_fma_f32 v23, -v14, v17, 1.0
	v_fmac_f32_e32 v17, v23, v17
	v_div_scale_f32 v23, vcc_lo, v2, v13, v2
	s_delay_alu instid0(VALU_DEP_1) | instskip(NEXT) | instid1(VALU_DEP_1)
	v_mul_f32_e32 v29, v23, v17
	v_fma_f32 v31, -v14, v29, v23
	s_delay_alu instid0(VALU_DEP_1) | instskip(NEXT) | instid1(VALU_DEP_1)
	v_fmac_f32_e32 v29, v31, v17
	v_fma_f32 v14, -v14, v29, v23
	s_delay_alu instid0(VALU_DEP_1) | instskip(NEXT) | instid1(VALU_DEP_1)
	v_div_fmas_f32 v14, v14, v17, v29
	v_div_fixup_f32 v23, v14, v13, v2
.LBB8_245:                              ;   in Loop: Header=BB8_71 Depth=2
	s_or_b32 exec_lo, exec_lo, s4
.LBB8_246:                              ;   in Loop: Header=BB8_71 Depth=2
	s_or_saveexec_b32 s4, s7
	s_and_b32 vcc_lo, s3, s2
	v_cndmask_b32_e32 v11, v11, v6, vcc_lo
	s_xor_b32 exec_lo, exec_lo, s4
; %bb.247:                              ;   in Loop: Header=BB8_71 Depth=2
	s_delay_alu instid0(VALU_DEP_1)
	v_sub_f32_e32 v23, v11, v6
; %bb.248:                              ;   in Loop: Header=BB8_71 Depth=2
	s_or_b32 exec_lo, exec_lo, s4
	s_delay_alu instid0(VALU_DEP_1) | instskip(SKIP_1) | instid1(VALU_DEP_1)
	v_mul_f32_e32 v2, v30, v23
	s_mov_b32 s2, exec_lo
	v_cmpx_lt_f32_e32 0, v2
	s_cbranch_execz .LBB8_250
; %bb.249:                              ;   in Loop: Header=BB8_71 Depth=2
	v_div_scale_f32 v2, null, v33, v33, -v30
	s_delay_alu instid0(VALU_DEP_1) | instskip(SKIP_1) | instid1(TRANS32_DEP_1)
	v_rcp_f32_e32 v13, v2
	v_nop
	v_fma_f32 v14, -v2, v13, 1.0
	s_delay_alu instid0(VALU_DEP_1) | instskip(SKIP_1) | instid1(VALU_DEP_1)
	v_fmac_f32_e32 v13, v14, v13
	v_div_scale_f32 v14, vcc_lo, -v30, v33, -v30
	v_mul_f32_e32 v17, v14, v13
	s_delay_alu instid0(VALU_DEP_1) | instskip(NEXT) | instid1(VALU_DEP_1)
	v_fma_f32 v23, -v2, v17, v14
	v_fmac_f32_e32 v17, v23, v13
	s_delay_alu instid0(VALU_DEP_1) | instskip(NEXT) | instid1(VALU_DEP_1)
	v_fma_f32 v2, -v2, v17, v14
	v_div_fmas_f32 v2, v2, v13, v17
	s_delay_alu instid0(VALU_DEP_1)
	v_div_fixup_f32 v23, v2, v33, -v30
.LBB8_250:                              ;   in Loop: Header=BB8_71 Depth=2
	s_or_b32 exec_lo, exec_lo, s2
	v_cmp_lt_f32_e32 vcc_lo, v8, v6
	s_delay_alu instid0(VALU_DEP_2) | instskip(SKIP_1) | instid1(VALU_DEP_2)
	v_dual_add_f32 v13, v6, v23 :: v_dual_cndmask_b32 v2, v8, v6
	v_cmp_nge_f32_e32 vcc_lo, 0, v30
	v_cndmask_b32_e32 v17, v2, v8, vcc_lo
	s_delay_alu instid0(VALU_DEP_3) | instskip(NEXT) | instid1(VALU_DEP_2)
	v_cmp_gt_f32_e32 vcc_lo, v13, v11
	v_cmp_lt_f32_e64 s2, v13, v17
	s_or_b32 s3, vcc_lo, s2
	s_delay_alu instid0(SALU_CYCLE_1)
	s_and_saveexec_b32 s2, s3
	s_cbranch_execz .LBB8_256
; %bb.251:                              ;   in Loop: Header=BB8_71 Depth=2
	s_mov_b32 s3, exec_lo
                                        ; implicit-def: $vgpr23
	v_cmpx_ngt_f32_e32 0, v30
	s_xor_b32 s3, exec_lo, s3
; %bb.252:                              ;   in Loop: Header=BB8_71 Depth=2
	v_sub_f32_e32 v2, v17, v6
	s_delay_alu instid0(VALU_DEP_1)
	v_mul_f32_e32 v23, 0.5, v2
; %bb.253:                              ;   in Loop: Header=BB8_71 Depth=2
	s_and_not1_saveexec_b32 s3, s3
; %bb.254:                              ;   in Loop: Header=BB8_71 Depth=2
	v_sub_f32_e32 v2, v11, v6
	s_delay_alu instid0(VALU_DEP_1)
	v_mul_f32_e32 v23, 0.5, v2
; %bb.255:                              ;   in Loop: Header=BB8_71 Depth=2
	s_or_b32 exec_lo, exec_lo, s3
.LBB8_256:                              ;   in Loop: Header=BB8_71 Depth=2
	s_delay_alu instid0(SALU_CYCLE_1) | instskip(SKIP_2) | instid1(VALU_DEP_1)
	s_or_b32 exec_lo, exec_lo, s2
	v_mov_b32_e32 v31, 0
	s_and_not1_b32 vcc_lo, exec_lo, s103
	v_dual_mov_b32 v30, v31 :: v_dual_mov_b32 v14, v31
	s_cbranch_vccnz .LBB8_260
; %bb.257:                              ;   in Loop: Header=BB8_71 Depth=2
	v_dual_mov_b32 v2, 0 :: v_dual_mov_b32 v30, 0
	v_mov_b64_e32 v[28:29], v[20:21]
	s_mov_b64 s[2:3], s[62:63]
	s_mov_b32 s4, s70
	s_delay_alu instid0(VALU_DEP_2)
	v_mov_b32_e32 v31, v2
.LBB8_258:                              ;   Parent Loop BB8_4 Depth=1
                                        ;     Parent Loop BB8_71 Depth=2
                                        ; =>    This Inner Loop Header: Depth=3
	global_load_b32 v8, v[28:29], off
	s_add_co_i32 s4, s4, -1
	s_delay_alu instid0(SALU_CYCLE_1)
	s_cmp_eq_u32 s4, 0
	s_wait_loadcnt 0x0
	v_sub_f32_e32 v8, v8, v23
	global_store_b32 v[28:29], v8, off
	global_load_b32 v32, v3, s[2:3]
	s_wait_xcnt 0x1
	v_add_nc_u64_e32 v[28:29], 4, v[28:29]
	s_wait_xcnt 0x0
	s_add_nc_u64 s[2:3], s[2:3], 4
	s_wait_loadcnt 0x0
	v_div_scale_f32 v13, null, v8, v8, v32
	s_delay_alu instid0(VALU_DEP_1) | instskip(SKIP_1) | instid1(TRANS32_DEP_1)
	v_rcp_f32_e32 v14, v13
	v_nop
	v_fma_f32 v33, -v13, v14, 1.0
	s_delay_alu instid0(VALU_DEP_1) | instskip(SKIP_1) | instid1(VALU_DEP_1)
	v_fmac_f32_e32 v14, v33, v14
	v_div_scale_f32 v34, vcc_lo, v32, v8, v32
	v_mul_f32_e32 v33, v34, v14
	s_delay_alu instid0(VALU_DEP_1) | instskip(NEXT) | instid1(VALU_DEP_1)
	v_fma_f32 v35, -v13, v33, v34
	v_fmac_f32_e32 v33, v35, v14
	s_delay_alu instid0(VALU_DEP_1) | instskip(NEXT) | instid1(VALU_DEP_1)
	v_fma_f32 v13, -v13, v33, v34
	v_div_fmas_f32 v13, v13, v14, v33
	s_delay_alu instid0(VALU_DEP_1) | instskip(NEXT) | instid1(VALU_DEP_1)
	v_div_fixup_f32 v33, v13, v8, v32
	v_mov_b32_e32 v8, v33
	s_delay_alu instid0(VALU_DEP_1) | instskip(NEXT) | instid1(VALU_DEP_1)
	v_pk_fma_f32 v[30:31], v[32:33], v[8:9], v[30:31] op_sel_hi:[1,0,1]
	v_add_f32_e32 v2, v2, v30
	s_cbranch_scc0 .LBB8_258
; %bb.259:                              ;   in Loop: Header=BB8_71 Depth=2
	global_load_b32 v28, v[24:25], off
	v_and_b32_e32 v14, 0x7fffffff, v2
.LBB8_260:                              ;   in Loop: Header=BB8_71 Depth=2
	s_wait_loadcnt 0x0
	v_sub_f32_e32 v28, v28, v23
	s_mov_b32 s4, exec_lo
	v_add_f32_e32 v6, v6, v23
	global_store_b32 v[24:25], v28, off
	global_load_b32 v8, v3, s[76:77]
	v_and_b32_e32 v39, 0x7fffffff, v6
	s_wait_loadcnt 0x0
	v_div_scale_f32 v2, null, v28, v28, v8
	s_delay_alu instid0(VALU_DEP_1) | instskip(SKIP_1) | instid1(TRANS32_DEP_1)
	v_rcp_f32_e32 v13, v2
	v_nop
	v_fma_f32 v29, -v2, v13, 1.0
	s_delay_alu instid0(VALU_DEP_1) | instskip(SKIP_1) | instid1(VALU_DEP_1)
	v_fmac_f32_e32 v13, v29, v13
	v_div_scale_f32 v32, vcc_lo, v8, v28, v8
	v_mul_f32_e32 v29, v32, v13
	s_delay_alu instid0(VALU_DEP_1) | instskip(NEXT) | instid1(VALU_DEP_1)
	v_fma_f32 v33, -v2, v29, v32
	v_fmac_f32_e32 v29, v33, v13
	s_delay_alu instid0(VALU_DEP_1) | instskip(NEXT) | instid1(VALU_DEP_1)
	v_fma_f32 v2, -v2, v29, v32
	v_div_fmas_f32 v2, v2, v13, v29
	s_delay_alu instid0(VALU_DEP_1) | instskip(NEXT) | instid1(VALU_DEP_1)
	v_div_fixup_f32 v29, v2, v28, v8
	v_dual_mov_b32 v2, v30 :: v_dual_mul_f32 v13, v8, v29
	v_mul_f32_e32 v32, v29, v29
	s_delay_alu instid0(VALU_DEP_2) | instskip(NEXT) | instid1(VALU_DEP_2)
	v_pk_add_f32 v[34:35], v[12:13], v[2:3]
	v_dual_mov_b32 v37, v32 :: v_dual_mov_b32 v38, v9
	s_delay_alu instid0(VALU_DEP_2) | instskip(NEXT) | instid1(VALU_DEP_1)
	v_mov_b32_e32 v36, v35
	v_pk_add_f32 v[36:37], v[30:31], v[36:37]
	s_delay_alu instid0(VALU_DEP_1) | instskip(NEXT) | instid1(VALU_DEP_1)
	v_pk_mul_f32 v[36:37], v[38:39], v[36:37]
	v_sub_f32_e32 v2, v37, v36
	s_delay_alu instid0(VALU_DEP_1) | instskip(SKIP_1) | instid1(VALU_DEP_1)
	v_pk_add_f32 v[36:37], v[2:3], v[34:35] op_sel_hi:[0,1] neg_lo:[0,1] neg_hi:[0,1]
	v_dual_mov_b32 v36, v35 :: v_dual_mov_b32 v2, v35
	v_pk_add_f32 v[36:37], v[14:15], v[36:37]
	s_delay_alu instid0(VALU_DEP_2) | instskip(NEXT) | instid1(VALU_DEP_2)
	v_pk_add_f32 v[34:35], v[34:35], v[2:3]
	v_add_f32_e32 v8, v36, v37
	s_delay_alu instid0(VALU_DEP_1) | instskip(SKIP_1) | instid1(VALU_DEP_1)
	v_mul_f32_e32 v2, s82, v8
	s_wait_xcnt 0x0
	v_cmpx_nle_f32_e64 |v34|, v2
	s_cbranch_execz .LBB8_280
; %bb.261:                              ;   in Loop: Header=BB8_71 Depth=2
	v_dual_mov_b32 v30, v31 :: v_dual_mov_b32 v29, v34
	s_mov_b32 s18, 1
	s_mov_b32 s7, 0
	s_branch .LBB8_263
.LBB8_262:                              ;   in Loop: Header=BB8_263 Depth=3
	s_wait_loadcnt 0x0
	v_sub_f32_e32 v28, v28, v8
	s_add_co_i32 s2, s18, 1
	s_cmp_gt_u32 s18, 48
	v_add_f32_e32 v6, v6, v8
	s_cselect_b32 s18, -1, 0
	global_store_b32 v[24:25], v28, off
	global_load_b32 v13, v3, s[76:77]
	v_and_b32_e32 v8, 0x7fffffff, v6
	s_wait_loadcnt 0x0
	v_div_scale_f32 v2, null, v28, v28, v13
	s_delay_alu instid0(VALU_DEP_1) | instskip(SKIP_1) | instid1(TRANS32_DEP_1)
	v_rcp_f32_e32 v23, v2
	v_nop
	v_fma_f32 v29, -v2, v23, 1.0
	s_delay_alu instid0(VALU_DEP_1) | instskip(SKIP_1) | instid1(VALU_DEP_1)
	v_fmac_f32_e32 v23, v29, v23
	v_div_scale_f32 v32, vcc_lo, v13, v28, v13
	v_mul_f32_e32 v29, v32, v23
	s_delay_alu instid0(VALU_DEP_1) | instskip(NEXT) | instid1(VALU_DEP_1)
	v_fma_f32 v33, -v2, v29, v32
	v_fmac_f32_e32 v29, v33, v23
	s_delay_alu instid0(VALU_DEP_1) | instskip(NEXT) | instid1(VALU_DEP_1)
	v_fma_f32 v2, -v2, v29, v32
	v_div_fmas_f32 v2, v2, v23, v29
	s_delay_alu instid0(VALU_DEP_1) | instskip(NEXT) | instid1(VALU_DEP_1)
	v_div_fixup_f32 v23, v2, v28, v13
	v_dual_mov_b32 v2, v31 :: v_dual_mul_f32 v13, v13, v23
	v_mul_f32_e32 v32, v23, v23
	s_delay_alu instid0(VALU_DEP_2) | instskip(NEXT) | instid1(VALU_DEP_1)
	v_pk_add_f32 v[34:35], v[12:13], v[2:3]
	v_mov_b32_e32 v33, v35
	s_delay_alu instid0(VALU_DEP_1) | instskip(NEXT) | instid1(VALU_DEP_1)
	v_pk_add_f32 v[36:37], v[30:31], v[32:33]
	v_pk_mul_f32 v[36:37], v[8:9], v[36:37]
	s_delay_alu instid0(VALU_DEP_1) | instskip(NEXT) | instid1(VALU_DEP_1)
	v_sub_f32_e32 v2, v36, v37
	v_pk_add_f32 v[36:37], v[2:3], v[34:35] op_sel_hi:[0,1] neg_lo:[0,1] neg_hi:[0,1]
	v_mov_b32_e32 v36, v35
	s_delay_alu instid0(VALU_DEP_1) | instskip(NEXT) | instid1(VALU_DEP_1)
	v_pk_add_f32 v[36:37], v[14:15], v[36:37]
	v_mov_b32_e32 v2, v37
	s_delay_alu instid0(VALU_DEP_1) | instskip(NEXT) | instid1(VALU_DEP_1)
	v_pk_add_f32 v[36:37], v[36:37], v[2:3]
	v_dual_mov_b32 v8, v35 :: v_dual_mul_f32 v2, s82, v36
	s_delay_alu instid0(VALU_DEP_1) | instskip(NEXT) | instid1(VALU_DEP_1)
	v_pk_add_f32 v[34:35], v[34:35], v[8:9]
	v_cmp_le_f32_e64 s3, |v34|, v2
	v_mov_b32_e32 v29, v34
	s_or_b32 s3, s18, s3
	s_mov_b32 s18, s2
	s_and_b32 s3, exec_lo, s3
	s_delay_alu instid0(SALU_CYCLE_1)
	s_or_b32 s7, s3, s7
	s_wait_xcnt 0x0
	s_and_not1_b32 exec_lo, exec_lo, s7
	s_cbranch_execz .LBB8_279
.LBB8_263:                              ;   Parent Loop BB8_4 Depth=1
                                        ;     Parent Loop BB8_71 Depth=2
                                        ; =>    This Loop Header: Depth=3
                                        ;         Child Loop BB8_277 Depth 4
	global_load_b32 v34, v[26:27], off
	v_add_f32_e32 v2, v32, v30
	s_wait_loadcnt 0x0
	v_dual_add_f32 v35, v28, v34 :: v_dual_fma_f32 v8, -v30, v34, v29
	s_delay_alu instid0(VALU_DEP_1) | instskip(NEXT) | instid1(VALU_DEP_1)
	v_pk_mul_f32 v[36:37], v[28:29], v[34:35]
	v_dual_fma_f32 v13, -v2, v36, v37 :: v_dual_mul_f32 v14, v36, v29
	s_delay_alu instid0(VALU_DEP_1) | instskip(NEXT) | instid1(VALU_DEP_2)
	v_dual_fma_f32 v23, -v28, v32, v8 :: v_dual_mul_f32 v8, v13, v13
	v_mul_f32_e32 v30, -4.0, v14
	s_delay_alu instid0(VALU_DEP_1) | instskip(NEXT) | instid1(VALU_DEP_1)
	v_fmac_f32_e32 v8, v30, v23
	v_mul_f32_e64 v30, 0x4f800000, |v8|
	v_cmp_gt_f32_e64 vcc_lo, 0xf800000, |v8|
	s_delay_alu instid0(VALU_DEP_1) | instskip(NEXT) | instid1(VALU_DEP_1)
	v_cndmask_b32_e64 v8, |v8|, v30, vcc_lo
	v_sqrt_f32_e32 v30, v8
	v_nop
	s_delay_alu instid0(TRANS32_DEP_1) | instskip(NEXT) | instid1(VALU_DEP_1)
	v_dual_add_nc_u32 v31, -1, v30 :: v_dual_add_nc_u32 v32, 1, v30
	v_fma_f32 v33, -v31, v30, v8
	s_delay_alu instid0(VALU_DEP_1) | instskip(NEXT) | instid1(VALU_DEP_1)
	v_cmp_ge_f32_e64 s2, 0, v33
	v_dual_fma_f32 v34, -v32, v30, v8 :: v_dual_cndmask_b32 v30, v30, v31, s2
	s_delay_alu instid0(VALU_DEP_1) | instskip(NEXT) | instid1(VALU_DEP_1)
	v_cmp_lt_f32_e64 s2, 0, v34
	v_cndmask_b32_e64 v30, v30, v32, s2
	s_mov_b32 s2, exec_lo
	s_delay_alu instid0(VALU_DEP_1) | instskip(NEXT) | instid1(VALU_DEP_1)
	v_mul_f32_e32 v31, 0x37800000, v30
	v_cndmask_b32_e32 v30, v30, v31, vcc_lo
	v_cmp_class_f32_e64 vcc_lo, v8, 0x260
	s_delay_alu instid0(VALU_DEP_2)
	v_cndmask_b32_e32 v30, v30, v8, vcc_lo
                                        ; implicit-def: $vgpr8
	s_wait_xcnt 0x0
	v_cmpx_le_f32_e32 0, v13
	s_xor_b32 s2, exec_lo, s2
	s_cbranch_execz .LBB8_265
; %bb.264:                              ;   in Loop: Header=BB8_263 Depth=3
	v_dual_add_f32 v8, v13, v30 :: v_dual_add_f32 v13, v23, v23
	s_delay_alu instid0(VALU_DEP_1) | instskip(NEXT) | instid1(VALU_DEP_1)
	v_div_scale_f32 v14, null, v13, v13, v8
	v_rcp_f32_e32 v23, v14
	v_nop
	s_delay_alu instid0(TRANS32_DEP_1) | instskip(NEXT) | instid1(VALU_DEP_1)
	v_fma_f32 v30, -v14, v23, 1.0
	v_fmac_f32_e32 v23, v30, v23
	v_div_scale_f32 v30, vcc_lo, v8, v13, v8
	s_delay_alu instid0(VALU_DEP_1) | instskip(NEXT) | instid1(VALU_DEP_1)
	v_mul_f32_e32 v31, v30, v23
	v_fma_f32 v32, -v14, v31, v30
	s_delay_alu instid0(VALU_DEP_1) | instskip(NEXT) | instid1(VALU_DEP_1)
	v_fmac_f32_e32 v31, v32, v23
	v_fma_f32 v14, -v14, v31, v30
                                        ; implicit-def: $vgpr30
	s_delay_alu instid0(VALU_DEP_1) | instskip(NEXT) | instid1(VALU_DEP_1)
	v_div_fmas_f32 v14, v14, v23, v31
	v_div_fixup_f32 v8, v14, v13, v8
                                        ; implicit-def: $vgpr14
                                        ; implicit-def: $vgpr13
.LBB8_265:                              ;   in Loop: Header=BB8_263 Depth=3
	s_and_not1_saveexec_b32 s2, s2
	s_cbranch_execz .LBB8_267
; %bb.266:                              ;   in Loop: Header=BB8_263 Depth=3
	v_add_f32_e32 v8, v14, v14
	v_sub_f32_e32 v13, v13, v30
	s_delay_alu instid0(VALU_DEP_1) | instskip(NEXT) | instid1(VALU_DEP_1)
	v_div_scale_f32 v14, null, v13, v13, v8
	v_rcp_f32_e32 v23, v14
	v_nop
	s_delay_alu instid0(TRANS32_DEP_1) | instskip(NEXT) | instid1(VALU_DEP_1)
	v_fma_f32 v30, -v14, v23, 1.0
	v_fmac_f32_e32 v23, v30, v23
	v_div_scale_f32 v30, vcc_lo, v8, v13, v8
	s_delay_alu instid0(VALU_DEP_1) | instskip(NEXT) | instid1(VALU_DEP_1)
	v_mul_f32_e32 v31, v30, v23
	v_fma_f32 v32, -v14, v31, v30
	s_delay_alu instid0(VALU_DEP_1) | instskip(NEXT) | instid1(VALU_DEP_1)
	v_fmac_f32_e32 v31, v32, v23
	v_fma_f32 v14, -v14, v31, v30
	s_delay_alu instid0(VALU_DEP_1) | instskip(NEXT) | instid1(VALU_DEP_1)
	v_div_fmas_f32 v14, v14, v23, v31
	v_div_fixup_f32 v8, v14, v13, v8
.LBB8_267:                              ;   in Loop: Header=BB8_263 Depth=3
	s_or_b32 exec_lo, exec_lo, s2
	s_delay_alu instid0(VALU_DEP_1) | instskip(SKIP_1) | instid1(VALU_DEP_1)
	v_mul_f32_e32 v13, v29, v8
	s_mov_b32 s2, exec_lo
	v_cmpx_lt_f32_e32 0, v13
	s_cbranch_execz .LBB8_269
; %bb.268:                              ;   in Loop: Header=BB8_263 Depth=3
	v_div_scale_f32 v8, null, v2, v2, -v29
	s_delay_alu instid0(VALU_DEP_1) | instskip(SKIP_1) | instid1(TRANS32_DEP_1)
	v_rcp_f32_e32 v13, v8
	v_nop
	v_fma_f32 v14, -v8, v13, 1.0
	s_delay_alu instid0(VALU_DEP_1) | instskip(SKIP_1) | instid1(VALU_DEP_1)
	v_fmac_f32_e32 v13, v14, v13
	v_div_scale_f32 v14, vcc_lo, -v29, v2, -v29
	v_mul_f32_e32 v23, v14, v13
	s_delay_alu instid0(VALU_DEP_1) | instskip(NEXT) | instid1(VALU_DEP_1)
	v_fma_f32 v30, -v8, v23, v14
	v_fmac_f32_e32 v23, v30, v13
	s_delay_alu instid0(VALU_DEP_1) | instskip(NEXT) | instid1(VALU_DEP_1)
	v_fma_f32 v8, -v8, v23, v14
	v_div_fmas_f32 v8, v8, v13, v23
	s_delay_alu instid0(VALU_DEP_1)
	v_div_fixup_f32 v8, v8, v2, -v29
.LBB8_269:                              ;   in Loop: Header=BB8_263 Depth=3
	s_or_b32 exec_lo, exec_lo, s2
	v_cmp_lt_f32_e32 vcc_lo, 0, v29
	v_cmp_lt_f32_e64 s2, v6, v11
	v_cmp_lt_f32_e64 s3, v17, v6
	v_add_f32_e32 v13, v6, v8
	s_and_b32 vcc_lo, vcc_lo, s2
	s_delay_alu instid0(SALU_CYCLE_1) | instskip(SKIP_1) | instid1(VALU_DEP_2)
	v_dual_cndmask_b32 v2, v17, v6, s3 :: v_dual_cndmask_b32 v11, v11, v6, vcc_lo
	v_cmp_nge_f32_e32 vcc_lo, 0, v29
	v_cndmask_b32_e32 v17, v2, v17, vcc_lo
	s_delay_alu instid0(VALU_DEP_3) | instskip(NEXT) | instid1(VALU_DEP_2)
	v_cmp_gt_f32_e32 vcc_lo, v13, v11
	v_cmp_lt_f32_e64 s2, v13, v17
	s_or_b32 s3, vcc_lo, s2
	s_delay_alu instid0(SALU_CYCLE_1)
	s_and_saveexec_b32 s2, s3
	s_cbranch_execz .LBB8_275
; %bb.270:                              ;   in Loop: Header=BB8_263 Depth=3
	s_mov_b32 s3, exec_lo
                                        ; implicit-def: $vgpr8
	v_cmpx_ngt_f32_e32 0, v29
	s_xor_b32 s3, exec_lo, s3
; %bb.271:                              ;   in Loop: Header=BB8_263 Depth=3
	v_sub_f32_e32 v2, v17, v6
	s_delay_alu instid0(VALU_DEP_1)
	v_mul_f32_e32 v8, 0.5, v2
; %bb.272:                              ;   in Loop: Header=BB8_263 Depth=3
	s_and_not1_saveexec_b32 s3, s3
; %bb.273:                              ;   in Loop: Header=BB8_263 Depth=3
	v_sub_f32_e32 v2, v11, v6
	s_delay_alu instid0(VALU_DEP_1)
	v_mul_f32_e32 v8, 0.5, v2
; %bb.274:                              ;   in Loop: Header=BB8_263 Depth=3
	s_or_b32 exec_lo, exec_lo, s3
.LBB8_275:                              ;   in Loop: Header=BB8_263 Depth=3
	s_delay_alu instid0(SALU_CYCLE_1) | instskip(SKIP_2) | instid1(VALU_DEP_1)
	s_or_b32 exec_lo, exec_lo, s2
	v_mov_b32_e32 v31, 0
	s_and_not1_b32 vcc_lo, exec_lo, s103
	v_dual_mov_b32 v30, v31 :: v_dual_mov_b32 v14, v31
	s_cbranch_vccnz .LBB8_262
; %bb.276:                              ;   in Loop: Header=BB8_263 Depth=3
	v_dual_mov_b32 v2, 0 :: v_dual_mov_b32 v30, 0
	v_mov_b64_e32 v[28:29], v[20:21]
	s_mov_b64 s[2:3], s[62:63]
	s_mov_b32 s36, s70
	s_delay_alu instid0(VALU_DEP_2)
	v_mov_b32_e32 v31, v2
.LBB8_277:                              ;   Parent Loop BB8_4 Depth=1
                                        ;     Parent Loop BB8_71 Depth=2
                                        ;       Parent Loop BB8_263 Depth=3
                                        ; =>      This Inner Loop Header: Depth=4
	global_load_b32 v13, v[28:29], off
	s_add_co_i32 s36, s36, -1
	s_delay_alu instid0(SALU_CYCLE_1)
	s_cmp_eq_u32 s36, 0
	s_wait_loadcnt 0x0
	v_sub_f32_e32 v13, v13, v8
	global_store_b32 v[28:29], v13, off
	global_load_b32 v33, v3, s[2:3]
	s_wait_xcnt 0x1
	v_add_nc_u64_e32 v[28:29], 4, v[28:29]
	s_wait_xcnt 0x0
	s_add_nc_u64 s[2:3], s[2:3], 4
	s_wait_loadcnt 0x0
	v_div_scale_f32 v14, null, v13, v13, v33
	s_delay_alu instid0(VALU_DEP_1) | instskip(SKIP_1) | instid1(TRANS32_DEP_1)
	v_rcp_f32_e32 v23, v14
	v_nop
	v_fma_f32 v32, -v14, v23, 1.0
	s_delay_alu instid0(VALU_DEP_1) | instskip(SKIP_1) | instid1(VALU_DEP_1)
	v_fmac_f32_e32 v23, v32, v23
	v_div_scale_f32 v34, vcc_lo, v33, v13, v33
	v_mul_f32_e32 v32, v34, v23
	s_delay_alu instid0(VALU_DEP_1) | instskip(NEXT) | instid1(VALU_DEP_1)
	v_fma_f32 v35, -v14, v32, v34
	v_fmac_f32_e32 v32, v35, v23
	s_delay_alu instid0(VALU_DEP_1) | instskip(NEXT) | instid1(VALU_DEP_1)
	v_fma_f32 v14, -v14, v32, v34
	v_div_fmas_f32 v14, v14, v23, v32
	s_delay_alu instid0(VALU_DEP_1) | instskip(NEXT) | instid1(VALU_DEP_1)
	v_div_fixup_f32 v32, v14, v13, v33
	v_pk_fma_f32 v[30:31], v[32:33], v[32:33], v[30:31] op_sel_hi:[1,0,1]
	s_delay_alu instid0(VALU_DEP_1)
	v_add_f32_e32 v2, v2, v31
	s_cbranch_scc0 .LBB8_277
; %bb.278:                              ;   in Loop: Header=BB8_263 Depth=3
	global_load_b32 v28, v[24:25], off
	v_and_b32_e32 v14, 0x7fffffff, v2
	s_branch .LBB8_262
.LBB8_279:                              ;   in Loop: Header=BB8_71 Depth=2
	s_or_b32 exec_lo, exec_lo, s7
.LBB8_280:                              ;   in Loop: Header=BB8_71 Depth=2
	s_delay_alu instid0(SALU_CYCLE_1)
	s_or_b32 exec_lo, exec_lo, s4
.LBB8_281:                              ;   in Loop: Header=BB8_71 Depth=2
	s_delay_alu instid0(SALU_CYCLE_1)
	s_or_b32 exec_lo, exec_lo, s6
	v_add_f32_e32 v17, v22, v6
	s_or_b32 exec_lo, exec_lo, s5
	global_store_b32 v[18:19], v17, off
	s_wait_xcnt 0x0
	s_and_b32 exec_lo, exec_lo, s1
	s_cbranch_execz .LBB8_70
.LBB8_282:                              ;   in Loop: Header=BB8_71 Depth=2
	v_xor_b32_e32 v2, 0x80000000, v17
	global_store_b32 v[18:19], v2, off
	s_branch .LBB8_70
.LBB8_283:                              ;   in Loop: Header=BB8_4 Depth=1
	s_or_b32 exec_lo, exec_lo, s100
	s_wait_storecnt 0x0
	s_barrier_signal -1
	s_barrier_wait -1
	s_and_saveexec_b32 s18, s0
	s_cbranch_execz .LBB8_2
; %bb.284:                              ;   in Loop: Header=BB8_4 Depth=1
	v_readlane_b32 s0, v62, 0
	v_readlane_b32 s1, v62, 1
	v_mov_b32_e32 v2, v0
	s_add_nc_u64 s[2:3], s[12:13], s[64:65]
	s_add_nc_u64 s[6:7], s[52:53], s[64:65]
	s_mov_b32 s46, 0
	s_add_nc_u64 s[4:5], s[0:1], s[64:65]
	s_branch .LBB8_287
.LBB8_285:                              ;   in Loop: Header=BB8_287 Depth=2
	v_mul_f32_e64 v8, 0x4f800000, |v6|
	v_cmp_gt_f32_e64 vcc_lo, 0xf800000, |v6|
	s_delay_alu instid0(VALU_DEP_1) | instskip(NEXT) | instid1(VALU_DEP_1)
	v_cndmask_b32_e64 v6, |v6|, v8, vcc_lo
	v_sqrt_f32_e32 v8, v6
	v_nop
	s_delay_alu instid0(TRANS32_DEP_1) | instskip(NEXT) | instid1(VALU_DEP_1)
	v_dual_add_nc_u32 v10, -1, v8 :: v_dual_add_nc_u32 v11, 1, v8
	v_dual_fma_f32 v12, -v10, v8, v6 :: v_dual_fma_f32 v13, -v11, v8, v6
	s_delay_alu instid0(VALU_DEP_1) | instskip(NEXT) | instid1(VALU_DEP_1)
	v_cmp_ge_f32_e64 s0, 0, v12
	v_cndmask_b32_e64 v8, v8, v10, s0
	s_delay_alu instid0(VALU_DEP_3) | instskip(NEXT) | instid1(VALU_DEP_1)
	v_cmp_lt_f32_e64 s0, 0, v13
	v_cndmask_b32_e64 v8, v8, v11, s0
	s_delay_alu instid0(VALU_DEP_1) | instskip(NEXT) | instid1(VALU_DEP_1)
	v_mul_f32_e32 v10, 0x37800000, v8
	v_cndmask_b32_e32 v8, v8, v10, vcc_lo
	v_cmp_class_f32_e64 vcc_lo, v6, 0x260
	s_delay_alu instid0(VALU_DEP_2)
	v_cndmask_b32_e32 v6, v8, v6, vcc_lo
.LBB8_286:                              ;   in Loop: Header=BB8_287 Depth=2
	v_lshl_add_u64 v[10:11], v[2:3], 2, s[62:63]
	v_add_nc_u32_e32 v2, s23, v2
	global_load_b32 v8, v[10:11], off
	v_cmp_le_u32_e32 vcc_lo, s99, v2
	s_or_b32 s46, vcc_lo, s46
	s_wait_loadcnt 0x0
	v_cmp_gt_f32_e64 s0, 0, v8
	s_delay_alu instid0(VALU_DEP_1)
	v_cndmask_b32_e64 v6, v6, -v6, s0
	global_store_b32 v[10:11], v6, off
	s_wait_xcnt 0x0
	s_and_not1_b32 exec_lo, exec_lo, s46
	s_cbranch_execz .LBB8_2
.LBB8_287:                              ;   Parent Loop BB8_4 Depth=1
                                        ; =>  This Loop Header: Depth=2
                                        ;       Child Loop BB8_291 Depth 3
	s_and_not1_b32 vcc_lo, exec_lo, s98
	s_cbranch_vccnz .LBB8_294
; %bb.288:                              ;   in Loop: Header=BB8_287 Depth=2
	v_lshl_add_u64 v[10:11], v[2:3], 2, s[4:5]
	v_dual_mov_b32 v6, 1.0 :: v_dual_mov_b32 v8, v2
	s_mov_b32 s36, 0
	s_mov_b64 s[0:1], s[2:3]
	s_mov_b64 s[60:61], s[6:7]
	s_branch .LBB8_291
.LBB8_289:                              ;   in Loop: Header=BB8_291 Depth=3
	s_wait_xcnt 0x0
	s_or_b32 exec_lo, exec_lo, s37
	s_wait_loadcnt 0x0
	v_mul_f32_e32 v6, v6, v12
.LBB8_290:                              ;   in Loop: Header=BB8_291 Depth=3
	v_add_nc_u32_e32 v8, s22, v8
	s_add_co_i32 s36, s36, 1
	s_wait_xcnt 0x0
	s_add_nc_u64 s[60:61], s[60:61], 4
	s_cmp_eq_u32 s21, s36
	s_add_nc_u64 s[0:1], s[0:1], 4
	s_cbranch_scc1 .LBB8_285
.LBB8_291:                              ;   Parent Loop BB8_4 Depth=1
                                        ;     Parent Loop BB8_287 Depth=2
                                        ; =>    This Inner Loop Header: Depth=3
	global_load_b32 v12, v3, s[60:61]
	s_wait_loadcnt 0x0
	v_cmp_ne_u32_e32 vcc_lo, 1, v12
	s_cbranch_vccnz .LBB8_290
; %bb.292:                              ;   in Loop: Header=BB8_291 Depth=3
	global_load_b32 v13, v[10:11], off offset:8
	global_load_b32 v12, v8, s[58:59] scale_offset
	s_mov_b32 s37, exec_lo
	s_wait_loadcnt 0x1
	s_wait_xcnt 0x0
	v_cmpx_ne_u32_e64 s36, v13
	s_cbranch_execz .LBB8_289
; %bb.293:                              ;   in Loop: Header=BB8_291 Depth=3
	global_load_b32 v13, v13, s[2:3] scale_offset
	global_load_b32 v14, v3, s[0:1]
	s_wait_loadcnt 0x0
	s_wait_xcnt 0x1
	v_sub_f32_e32 v13, v13, v14
	s_delay_alu instid0(VALU_DEP_1) | instskip(NEXT) | instid1(VALU_DEP_1)
	v_div_scale_f32 v14, null, v13, v13, v12
	v_rcp_f32_e32 v15, v14
	v_nop
	s_delay_alu instid0(TRANS32_DEP_1) | instskip(NEXT) | instid1(VALU_DEP_1)
	v_fma_f32 v16, -v14, v15, 1.0
	v_fmac_f32_e32 v15, v16, v15
	v_div_scale_f32 v16, vcc_lo, v12, v13, v12
	s_delay_alu instid0(VALU_DEP_1) | instskip(NEXT) | instid1(VALU_DEP_1)
	v_mul_f32_e32 v17, v16, v15
	v_fma_f32 v18, -v14, v17, v16
	s_delay_alu instid0(VALU_DEP_1) | instskip(NEXT) | instid1(VALU_DEP_1)
	v_fmac_f32_e32 v17, v18, v15
	v_fma_f32 v14, -v14, v17, v16
	s_delay_alu instid0(VALU_DEP_1) | instskip(NEXT) | instid1(VALU_DEP_1)
	v_div_fmas_f32 v14, v14, v15, v17
	v_div_fixup_f32 v12, v14, v13, v12
	s_branch .LBB8_289
.LBB8_294:                              ;   in Loop: Header=BB8_287 Depth=2
	v_mov_b32_e32 v6, 1.0
	s_branch .LBB8_286
.LBB8_295:
	s_endpgm
	.section	.rodata,"a",@progbits
	.p2align	6, 0x0
	.amdhsa_kernel _ZN9rocsolver6v33100L25stedcx_mergeValues_kernelIfEEviiPT_lS3_lS3_S3_PiS2_S2_S2_
		.amdhsa_group_segment_fixed_size 0
		.amdhsa_private_segment_fixed_size 0
		.amdhsa_kernarg_size 336
		.amdhsa_user_sgpr_count 2
		.amdhsa_user_sgpr_dispatch_ptr 0
		.amdhsa_user_sgpr_queue_ptr 0
		.amdhsa_user_sgpr_kernarg_segment_ptr 1
		.amdhsa_user_sgpr_dispatch_id 0
		.amdhsa_user_sgpr_kernarg_preload_length 0
		.amdhsa_user_sgpr_kernarg_preload_offset 0
		.amdhsa_user_sgpr_private_segment_size 0
		.amdhsa_wavefront_size32 1
		.amdhsa_uses_dynamic_stack 0
		.amdhsa_enable_private_segment 0
		.amdhsa_system_sgpr_workgroup_id_x 1
		.amdhsa_system_sgpr_workgroup_id_y 1
		.amdhsa_system_sgpr_workgroup_id_z 1
		.amdhsa_system_sgpr_workgroup_info 0
		.amdhsa_system_vgpr_workitem_id 0
		.amdhsa_next_free_vgpr 63
		.amdhsa_next_free_sgpr 105
		.amdhsa_named_barrier_count 0
		.amdhsa_reserve_vcc 1
		.amdhsa_float_round_mode_32 0
		.amdhsa_float_round_mode_16_64 0
		.amdhsa_float_denorm_mode_32 3
		.amdhsa_float_denorm_mode_16_64 3
		.amdhsa_fp16_overflow 0
		.amdhsa_memory_ordered 1
		.amdhsa_forward_progress 1
		.amdhsa_inst_pref_size 137
		.amdhsa_round_robin_scheduling 0
		.amdhsa_exception_fp_ieee_invalid_op 0
		.amdhsa_exception_fp_denorm_src 0
		.amdhsa_exception_fp_ieee_div_zero 0
		.amdhsa_exception_fp_ieee_overflow 0
		.amdhsa_exception_fp_ieee_underflow 0
		.amdhsa_exception_fp_ieee_inexact 0
		.amdhsa_exception_int_div_zero 0
	.end_amdhsa_kernel
	.section	.text._ZN9rocsolver6v33100L25stedcx_mergeValues_kernelIfEEviiPT_lS3_lS3_S3_PiS2_S2_S2_,"axG",@progbits,_ZN9rocsolver6v33100L25stedcx_mergeValues_kernelIfEEviiPT_lS3_lS3_S3_PiS2_S2_S2_,comdat
.Lfunc_end8:
	.size	_ZN9rocsolver6v33100L25stedcx_mergeValues_kernelIfEEviiPT_lS3_lS3_S3_PiS2_S2_S2_, .Lfunc_end8-_ZN9rocsolver6v33100L25stedcx_mergeValues_kernelIfEEviiPT_lS3_lS3_S3_PiS2_S2_S2_
                                        ; -- End function
	.set _ZN9rocsolver6v33100L25stedcx_mergeValues_kernelIfEEviiPT_lS3_lS3_S3_PiS2_S2_S2_.num_vgpr, 63
	.set _ZN9rocsolver6v33100L25stedcx_mergeValues_kernelIfEEviiPT_lS3_lS3_S3_PiS2_S2_S2_.num_agpr, 0
	.set _ZN9rocsolver6v33100L25stedcx_mergeValues_kernelIfEEviiPT_lS3_lS3_S3_PiS2_S2_S2_.numbered_sgpr, 105
	.set _ZN9rocsolver6v33100L25stedcx_mergeValues_kernelIfEEviiPT_lS3_lS3_S3_PiS2_S2_S2_.num_named_barrier, 0
	.set _ZN9rocsolver6v33100L25stedcx_mergeValues_kernelIfEEviiPT_lS3_lS3_S3_PiS2_S2_S2_.private_seg_size, 0
	.set _ZN9rocsolver6v33100L25stedcx_mergeValues_kernelIfEEviiPT_lS3_lS3_S3_PiS2_S2_S2_.uses_vcc, 1
	.set _ZN9rocsolver6v33100L25stedcx_mergeValues_kernelIfEEviiPT_lS3_lS3_S3_PiS2_S2_S2_.uses_flat_scratch, 0
	.set _ZN9rocsolver6v33100L25stedcx_mergeValues_kernelIfEEviiPT_lS3_lS3_S3_PiS2_S2_S2_.has_dyn_sized_stack, 0
	.set _ZN9rocsolver6v33100L25stedcx_mergeValues_kernelIfEEviiPT_lS3_lS3_S3_PiS2_S2_S2_.has_recursion, 0
	.set _ZN9rocsolver6v33100L25stedcx_mergeValues_kernelIfEEviiPT_lS3_lS3_S3_PiS2_S2_S2_.has_indirect_call, 0
	.section	.AMDGPU.csdata,"",@progbits
; Kernel info:
; codeLenInByte = 17456
; TotalNumSgprs: 107
; NumVgprs: 63
; ScratchSize: 0
; MemoryBound: 0
; FloatMode: 240
; IeeeMode: 1
; LDSByteSize: 0 bytes/workgroup (compile time only)
; SGPRBlocks: 0
; VGPRBlocks: 3
; NumSGPRsForWavesPerEU: 107
; NumVGPRsForWavesPerEU: 63
; NamedBarCnt: 0
; Occupancy: 16
; WaveLimiterHint : 1
; COMPUTE_PGM_RSRC2:SCRATCH_EN: 0
; COMPUTE_PGM_RSRC2:USER_SGPR: 2
; COMPUTE_PGM_RSRC2:TRAP_HANDLER: 0
; COMPUTE_PGM_RSRC2:TGID_X_EN: 1
; COMPUTE_PGM_RSRC2:TGID_Y_EN: 1
; COMPUTE_PGM_RSRC2:TGID_Z_EN: 1
; COMPUTE_PGM_RSRC2:TIDIG_COMP_CNT: 0
	.section	.text._ZN9rocsolver6v33100L26stedcx_mergeVectors_kernelILb0EfEEviiPT0_lS3_lS3_iilS3_S3_Pi,"axG",@progbits,_ZN9rocsolver6v33100L26stedcx_mergeVectors_kernelILb0EfEEviiPT0_lS3_lS3_iilS3_S3_Pi,comdat
	.globl	_ZN9rocsolver6v33100L26stedcx_mergeVectors_kernelILb0EfEEviiPT0_lS3_lS3_iilS3_S3_Pi ; -- Begin function _ZN9rocsolver6v33100L26stedcx_mergeVectors_kernelILb0EfEEviiPT0_lS3_lS3_iilS3_S3_Pi
	.p2align	8
	.type	_ZN9rocsolver6v33100L26stedcx_mergeVectors_kernelILb0EfEEviiPT0_lS3_lS3_iilS3_S3_Pi,@function
_ZN9rocsolver6v33100L26stedcx_mergeVectors_kernelILb0EfEEviiPT0_lS3_lS3_iilS3_S3_Pi: ; @_ZN9rocsolver6v33100L26stedcx_mergeVectors_kernelILb0EfEEviiPT0_lS3_lS3_iilS3_S3_Pi
; %bb.0:
	s_clause 0x1
	s_load_b128 s[12:15], s[0:1], 0x28
	s_load_b256 s[4:11], s[0:1], 0x38
	s_bfe_u32 s2, ttmp6, 0x40014
	s_lshr_b32 s3, ttmp7, 16
	s_add_co_i32 s2, s2, 1
	s_bfe_u32 s16, ttmp6, 0x40008
	s_mul_i32 s2, s3, s2
	s_getreg_b32 s26, hwreg(HW_REG_IB_STS2, 6, 4)
	s_add_co_i32 s16, s16, s2
	s_cmp_eq_u32 s26, 0
	s_mov_b32 s23, 0
	s_cselect_b32 s22, s3, s16
	s_wait_kmcnt 0x0
	s_cmp_eq_u64 s[12:13], 0
	s_cbranch_scc1 .LBB9_2
; %bb.1:
	s_mul_u64 s[2:3], s[4:5], s[22:23]
	s_ashr_i32 s5, s14, 31
	s_lshl_b64 s[2:3], s[2:3], 2
	s_mov_b32 s4, s14
	s_add_nc_u64 s[2:3], s[12:13], s[2:3]
	s_lshl_b64 s[4:5], s[4:5], 2
	s_delay_alu instid0(SALU_CYCLE_1)
	s_add_nc_u64 s[2:3], s[2:3], s[4:5]
	s_branch .LBB9_3
.LBB9_2:
                                        ; implicit-def: $sgpr2_sgpr3
.LBB9_3:
	s_load_b64 s[4:5], s[0:1], 0x0
	s_bfe_u32 s12, ttmp6, 0x40010
	s_and_b32 s13, ttmp7, 0xffff
	s_add_co_i32 s12, s12, 1
	s_bfe_u32 s14, ttmp6, 0x40004
	s_mul_i32 s12, s13, s12
	s_delay_alu instid0(SALU_CYCLE_1)
	s_add_co_i32 s14, s14, s12
	s_cmp_eq_u32 s26, 0
	s_cselect_b32 s12, s13, s14
	s_wait_kmcnt 0x0
	s_mul_i32 s16, s5, 5
	s_ashr_i32 s37, s5, 31
	s_add_co_i32 s13, s16, 2
	s_mov_b32 s36, s5
	s_mul_i32 s16, s13, s22
	s_lshl_b64 s[30:31], s[36:37], 2
	s_ashr_i32 s17, s16, 31
	s_delay_alu instid0(SALU_CYCLE_1) | instskip(NEXT) | instid1(SALU_CYCLE_1)
	s_lshl_b64 s[34:35], s[16:17], 2
	s_add_nc_u64 s[16:17], s[10:11], s[34:35]
	s_delay_alu instid0(SALU_CYCLE_1)
	s_add_nc_u64 s[18:19], s[16:17], s[30:31]
	s_load_b32 s14, s[18:19], 0x4
	s_wait_kmcnt 0x0
	s_cmp_ge_i32 s12, s14
	s_cbranch_scc1 .LBB9_65
; %bb.4:
	s_load_b32 s13, s[0:1], 0x64
	s_wait_xcnt 0x0
	s_lshl_b32 s0, s22, 1
	s_mul_i32 s22, s5, s5
	s_bfe_u32 s1, ttmp6, 0x4000c
	s_mul_i32 s38, s0, s5
	s_mul_i32 s0, s0, s22
	s_add_co_i32 s28, s1, 1
	s_and_b32 s27, ttmp6, 15
	s_ashr_i32 s1, s0, 31
	s_mul_i32 s28, ttmp9, s28
	s_ashr_i32 s39, s38, 31
	s_lshl_b64 s[40:41], s[0:1], 2
	s_add_co_i32 s0, s27, s28
	s_cmp_eq_u32 s26, 0
	s_add_nc_u64 s[20:21], s[18:19], s[30:31]
	s_cselect_b32 s33, ttmp9, s0
	s_lshl_b32 s49, 2, s4
	s_not_b32 s50, s4
	v_cvt_f32_u32_e32 v4, s49
	s_mul_u64 s[42:43], s[36:37], 12
	s_wait_kmcnt 0x0
	s_and_b32 s48, 0xffff, s13
	v_dual_mov_b32 v3, 0 :: v_dual_lshlrev_b32 v2, 2, v0
	s_cmp_gt_u32 s48, 1
	s_add_nc_u64 s[24:25], s[20:21], s[30:31]
	s_cselect_b32 s51, -1, 0
	s_lshl_b64 s[36:37], s[36:37], 4
	s_add_nc_u64 s[30:31], s[30:31], s[34:35]
	s_add_nc_u64 s[42:43], s[42:43], s[34:35]
	;; [unrolled: 1-line block ×3, first 2 shown]
	v_rcp_iflag_f32_e32 v4, v4
	s_add_nc_u64 s[30:31], s[10:11], s[30:31]
	s_add_nc_u64 s[42:43], s[10:11], s[42:43]
	;; [unrolled: 1-line block ×3, first 2 shown]
	s_lshl_b64 s[36:37], s[22:23], 2
	v_add_nc_u64_e32 v[6:7], s[10:11], v[2:3]
	s_add_nc_u64 s[10:11], s[40:41], s[36:37]
	s_lshl_b64 s[36:37], s[38:39], 2
	v_dual_mul_f32 v8, 0x4f7ffffe, v4 :: v_dual_add_nc_u32 v1, 0, v2
	s_add_nc_u64 s[36:37], s[6:7], s[36:37]
	v_cmp_eq_u32_e64 s0, 0, v0
	v_add_nc_u64_e32 v[4:5], s[36:37], v[2:3]
	v_add_nc_u64_e32 v[6:7], 8, v[6:7]
	v_cvt_u32_f32_e32 v2, v8
	s_add_nc_u64 s[26:27], s[8:9], s[40:41]
	s_ashr_i32 s52, s33, 31
	s_abs_i32 s28, s33
	s_mov_b32 s29, s23
	s_add_nc_u64 s[30:31], s[30:31], 8
	s_add_nc_u64 s[34:35], s[42:43], 8
	;; [unrolled: 1-line block ×3, first 2 shown]
	s_lshl_b32 s8, s48, 2
	s_mov_b32 s9, s23
	s_sub_co_i32 s53, 0, s49
                                        ; implicit-def: $vgpr12
	s_branch .LBB9_6
.LBB9_5:                                ;   in Loop: Header=BB9_6 Depth=1
	s_add_co_i32 s12, s12, 8
	s_delay_alu instid0(SALU_CYCLE_1)
	s_cmp_ge_i32 s12, s14
	s_cbranch_scc1 .LBB9_65
.LBB9_6:                                ; =>This Loop Header: Depth=1
                                        ;     Child Loop BB9_15 Depth 2
                                        ;     Child Loop BB9_19 Depth 2
	;; [unrolled: 1-line block ×9, first 2 shown]
                                        ;       Child Loop BB9_53 Depth 3
                                        ;       Child Loop BB9_56 Depth 3
	s_ashr_i32 s13, s12, 31
	s_delay_alu instid0(SALU_CYCLE_1)
	s_lshl_b64 s[10:11], s[12:13], 2
	s_barrier_signal -1
	s_add_nc_u64 s[36:37], s[16:17], s[10:11]
	s_barrier_wait -1
	s_load_b64 s[10:11], s[36:37], 0x0
	s_mov_b32 s1, 0
	s_wait_kmcnt 0x0
	s_sub_co_i32 s11, s11, s10
	s_delay_alu instid0(SALU_CYCLE_1)
	s_cmp_lt_i32 s11, 3
	s_cbranch_scc1 .LBB9_11
; %bb.7:                                ;   in Loop: Header=BB9_6 Depth=1
	s_cmp_lt_u32 s11, 5
	s_mov_b32 s1, 1
	s_cbranch_scc1 .LBB9_11
; %bb.8:                                ;   in Loop: Header=BB9_6 Depth=1
	s_cmp_lt_u32 s11, 33
	s_mov_b32 s1, 2
	;; [unrolled: 4-line block ×3, first 2 shown]
	s_cbranch_scc1 .LBB9_11
; %bb.10:                               ;   in Loop: Header=BB9_6 Depth=1
	s_cmp_lt_u32 s11, 0x128
	s_cselect_b32 s1, 5, 7
	s_cmp_lt_u32 s11, 0x79b
	s_cselect_b32 s1, s1, 8
.LBB9_11:                               ;   in Loop: Header=BB9_6 Depth=1
	s_delay_alu instid0(SALU_CYCLE_1) | instskip(SKIP_4) | instid1(SALU_CYCLE_1)
	s_lshl_b32 s13, 1, s1
	s_add_co_i32 s11, s11, -1
	v_cvt_f32_u32_e32 v8, s13
	s_sub_co_i32 s36, 0, s13
	s_ashr_i32 s54, s11, 31
	s_add_co_i32 s11, s11, s54
	s_delay_alu instid0(VALU_DEP_1) | instskip(SKIP_2) | instid1(TRANS32_DEP_1)
	v_rcp_iflag_f32_e32 v8, v8
	s_xor_b32 s55, s11, s54
	v_nop
	v_mul_f32_e32 v8, 0x4f7ffffe, v8
	s_delay_alu instid0(VALU_DEP_1) | instskip(NEXT) | instid1(VALU_DEP_1)
	v_cvt_u32_f32_e32 v8, v8
	v_readfirstlane_b32 s22, v8
	s_mul_i32 s36, s36, s22
	s_delay_alu instid0(SALU_CYCLE_1) | instskip(NEXT) | instid1(SALU_CYCLE_1)
	s_mul_hi_u32 s36, s22, s36
	s_add_co_i32 s22, s22, s36
	s_delay_alu instid0(SALU_CYCLE_1) | instskip(NEXT) | instid1(SALU_CYCLE_1)
	s_mul_hi_u32 s11, s55, s22
	s_mul_i32 s22, s11, s13
	s_add_co_i32 s36, s11, 1
	s_sub_co_i32 s22, s55, s22
	s_delay_alu instid0(SALU_CYCLE_1)
	s_sub_co_i32 s37, s22, s13
	s_cmp_ge_u32 s22, s13
	s_cselect_b32 s11, s36, s11
	s_cselect_b32 s22, s37, s22
	s_add_co_i32 s36, s11, 1
	s_cmp_ge_u32 s22, s13
	s_cselect_b32 s11, s36, s11
	s_delay_alu instid0(SALU_CYCLE_1) | instskip(NEXT) | instid1(SALU_CYCLE_1)
	s_xor_b32 s11, s11, s54
	s_sub_co_i32 s56, s11, s54
	s_delay_alu instid0(SALU_CYCLE_1) | instskip(NEXT) | instid1(SALU_CYCLE_1)
	s_add_co_i32 s56, s56, 1
	s_lshl_b32 s11, s56, s1
	s_delay_alu instid0(SALU_CYCLE_1) | instskip(SKIP_3) | instid1(SALU_CYCLE_1)
	s_cmp_ge_i32 s33, s11
	s_cselect_b32 s11, -1, 0
	s_cmp_ge_i32 s4, s1
	s_cselect_b32 s13, -1, 0
	s_or_b32 s11, s13, s11
	s_delay_alu instid0(SALU_CYCLE_1)
	s_and_b32 vcc_lo, exec_lo, s11
	s_cbranch_vccnz .LBB9_5
; %bb.12:                               ;   in Loop: Header=BB9_6 Depth=1
	s_abs_i32 s13, s56
	s_ashr_i32 s38, s56, 31
	s_cvt_f32_u32 s11, s13
	s_delay_alu instid0(SALU_CYCLE_3) | instskip(SKIP_1) | instid1(TRANS32_DEP_1)
	v_rcp_iflag_f32_e32 v8, s11
	v_nop
	v_readfirstlane_b32 s11, v8
	s_mul_f32 s11, s11, 0x4f7ffffe
	s_delay_alu instid0(SALU_CYCLE_3) | instskip(SKIP_1) | instid1(SALU_CYCLE_2)
	s_cvt_u32_f32 s22, s11
	s_sub_co_i32 s11, 0, s13
	s_mul_i32 s11, s11, s22
	s_delay_alu instid0(SALU_CYCLE_1)
	s_mul_hi_u32 s36, s22, s11
	s_ashr_i32 s11, s10, 31
	s_add_co_i32 s22, s22, s36
	s_lshl_b64 s[10:11], s[10:11], 2
	s_mul_u64 s[36:37], s[28:29], s[22:23]
	s_xor_b32 s36, s52, s38
	s_mul_i32 s22, s37, s13
	s_add_co_i32 s38, s37, 1
	s_sub_co_i32 s22, s28, s22
	s_add_nc_u64 s[44:45], s[18:19], s[10:11]
	s_sub_co_i32 s39, s22, s13
	s_cmp_ge_u32 s22, s13
	s_cselect_b32 s37, s38, s37
	s_cselect_b32 s22, s39, s22
	s_add_co_i32 s38, s37, 1
	s_cmp_ge_u32 s22, s13
	v_readfirstlane_b32 s13, v2
	s_cselect_b32 s22, s38, s37
	s_delay_alu instid0(SALU_CYCLE_1) | instskip(NEXT) | instid1(SALU_CYCLE_1)
	s_xor_b32 s22, s22, s36
	s_sub_co_i32 s36, s22, s36
	s_mul_i32 s22, s53, s13
	s_ashr_i32 s37, s36, 31
	s_mul_hi_u32 s22, s13, s22
	s_add_co_i32 s38, s36, s37
	s_add_co_i32 s13, s13, s22
	s_xor_b32 s22, s38, s37
	s_lshl_b64 s[40:41], s[36:37], 2
	s_mul_hi_u32 s13, s22, s13
	s_add_nc_u64 s[38:39], s[44:45], s[40:41]
	s_mul_i32 s13, s13, s49
	s_delay_alu instid0(SALU_CYCLE_1) | instskip(SKIP_4) | instid1(SALU_CYCLE_1)
	s_sub_co_i32 s22, s22, s13
	s_load_b32 s13, s[38:39], 0x8
	s_sub_co_i32 s42, s22, s49
	s_cmp_ge_u32 s22, s49
	s_cselect_b32 s22, s42, s22
	s_sub_co_i32 s42, s22, s49
	s_cmp_ge_u32 s22, s49
	s_cselect_b32 s22, s42, s22
	s_delay_alu instid0(SALU_CYCLE_1) | instskip(NEXT) | instid1(SALU_CYCLE_1)
	s_xor_b32 s22, s22, s37
	s_sub_co_i32 s37, s22, s37
	s_delay_alu instid0(SALU_CYCLE_1)
	s_sub_co_i32 s42, s36, s37
	s_cmp_lt_i32 s37, 1
	s_cbranch_scc1 .LBB9_20
; %bb.13:                               ;   in Loop: Header=BB9_6 Depth=1
	s_cmp_lt_u32 s37, 4
	s_mov_b32 s43, -1
	s_cbranch_scc1 .LBB9_17
; %bb.14:                               ;   in Loop: Header=BB9_6 Depth=1
	s_and_b32 s43, s37, 0x7ffffffc
	s_mov_b32 s22, 0
	s_mov_b32 s57, s43
	;; [unrolled: 1-line block ×5, first 2 shown]
.LBB9_15:                               ;   Parent Loop BB9_6 Depth=1
                                        ; =>  This Inner Loop Header: Depth=2
	s_ashr_i32 s47, s46, 31
	s_add_co_i32 s57, s57, -4
	s_lshl_b64 s[60:61], s[46:47], 2
	s_add_co_i32 s46, s46, 4
	s_add_nc_u64 s[64:65], s[44:45], s[60:61]
	s_load_b128 s[60:63], s[64:65], 0x8
	s_wait_kmcnt 0x0
	s_add_co_i32 s22, s61, s22
	s_add_co_i32 s13, s60, s13
	;; [unrolled: 1-line block ×4, first 2 shown]
	s_cmp_lg_u32 s57, 0
	s_cbranch_scc1 .LBB9_15
; %bb.16:                               ;   in Loop: Header=BB9_6 Depth=1
	s_add_co_i32 s44, s59, s22
	s_add_co_i32 s13, s58, s13
	s_and_b32 s22, s37, 3
	s_add_co_i32 s13, s13, s44
	s_cmp_lg_u32 s37, s43
	s_cselect_b32 s43, -1, 0
	s_delay_alu instid0(SALU_CYCLE_1)
	s_and_b32 vcc_lo, exec_lo, s43
	s_cbranch_vccnz .LBB9_18
	s_branch .LBB9_20
.LBB9_17:                               ;   in Loop: Header=BB9_6 Depth=1
	s_mov_b32 s22, s37
	s_and_b32 vcc_lo, exec_lo, s43
	s_cbranch_vccz .LBB9_20
.LBB9_18:                               ;   in Loop: Header=BB9_6 Depth=1
	s_add_nc_u64 s[44:45], s[10:11], s[40:41]
	s_lshl_b64 s[46:47], s[22:23], 2
	s_add_co_i32 s22, s22, 1
	s_sub_nc_u64 s[44:45], s[44:45], s[46:47]
	s_delay_alu instid0(SALU_CYCLE_1)
	s_add_nc_u64 s[44:45], s[30:31], s[44:45]
.LBB9_19:                               ;   Parent Loop BB9_6 Depth=1
                                        ; =>  This Inner Loop Header: Depth=2
	s_load_b32 s43, s[44:45], 0x0
	s_add_co_i32 s22, s22, -1
	s_wait_xcnt 0x0
	s_add_nc_u64 s[44:45], s[44:45], 4
	s_wait_kmcnt 0x0
	s_add_co_i32 s13, s43, s13
	s_cmp_lt_u32 s22, 2
	s_cbranch_scc0 .LBB9_19
.LBB9_20:                               ;   in Loop: Header=BB9_6 Depth=1
	s_not_b32 s22, s37
	s_delay_alu instid0(SALU_CYCLE_1) | instskip(NEXT) | instid1(SALU_CYCLE_1)
	s_add_co_i32 s22, s49, s22
	s_cmp_lt_i32 s22, 1
	s_cbranch_scc1 .LBB9_28
; %bb.21:                               ;   in Loop: Header=BB9_6 Depth=1
	s_cmp_lt_u32 s22, 4
	s_mov_b32 s37, -1
	s_cbranch_scc1 .LBB9_25
; %bb.22:                               ;   in Loop: Header=BB9_6 Depth=1
	s_and_b32 s37, s22, 0x7ffffffc
	s_mov_b32 s43, 0
	s_mov_b32 s44, s22
	;; [unrolled: 1-line block ×5, first 2 shown]
.LBB9_23:                               ;   Parent Loop BB9_6 Depth=1
                                        ; =>  This Inner Loop Header: Depth=2
	s_ashr_i32 s45, s44, 31
	s_add_co_i32 s47, s47, -4
	s_lshl_b64 s[58:59], s[44:45], 2
	s_add_co_i32 s44, s44, -4
	s_add_nc_u64 s[58:59], s[38:39], s[58:59]
	s_delay_alu instid0(SALU_CYCLE_1)
	s_add_nc_u64 s[58:59], s[58:59], -4
	s_load_b128 s[60:63], s[58:59], 0x0
	s_wait_kmcnt 0x0
	s_add_co_i32 s43, s62, s43
	s_add_co_i32 s13, s63, s13
	;; [unrolled: 1-line block ×4, first 2 shown]
	s_cmp_lg_u32 s47, 0
	s_cbranch_scc1 .LBB9_23
; %bb.24:                               ;   in Loop: Header=BB9_6 Depth=1
	s_add_co_i32 s43, s57, s43
	s_add_co_i32 s13, s46, s13
	s_and_b32 s44, s22, 3
	s_add_co_i32 s13, s13, s43
	s_cmp_lg_u32 s22, s37
	s_mov_b32 s22, s44
	s_cselect_b32 s37, -1, 0
.LBB9_25:                               ;   in Loop: Header=BB9_6 Depth=1
	s_delay_alu instid0(SALU_CYCLE_1)
	s_and_b32 vcc_lo, exec_lo, s37
	s_cbranch_vccz .LBB9_28
; %bb.26:                               ;   in Loop: Header=BB9_6 Depth=1
	s_add_nc_u64 s[44:45], s[10:11], s[40:41]
	s_lshl_b64 s[46:47], s[22:23], 2
	s_add_co_i32 s22, s22, 1
	s_add_nc_u64 s[44:45], s[44:45], s[46:47]
	s_delay_alu instid0(SALU_CYCLE_1)
	s_add_nc_u64 s[44:45], s[30:31], s[44:45]
.LBB9_27:                               ;   Parent Loop BB9_6 Depth=1
                                        ; =>  This Inner Loop Header: Depth=2
	s_load_b32 s37, s[44:45], 0x0
	s_add_co_i32 s22, s22, -1
	s_wait_xcnt 0x0
	s_add_nc_u64 s[44:45], s[44:45], -4
	s_wait_kmcnt 0x0
	s_add_co_i32 s13, s37, s13
	s_cmp_lt_u32 s22, 2
	s_cbranch_scc0 .LBB9_27
.LBB9_28:                               ;   in Loop: Header=BB9_6 Depth=1
	s_ashr_i32 s43, s42, 31
	s_add_nc_u64 s[44:45], s[20:21], s[10:11]
	s_lshl_b64 s[10:11], s[42:43], 2
	s_add_nc_u64 s[40:41], s[44:45], s[40:41]
	s_add_nc_u64 s[10:11], s[44:45], s[10:11]
	s_clause 0x1
	s_load_b32 s37, s[40:41], 0x8
	s_nop 0
	s_load_b32 s10, s[10:11], 0x8
	s_wait_kmcnt 0x0
	s_ashr_i32 s11, s10, 31
	s_cmp_lt_i32 s13, 1
	s_cbranch_scc1 .LBB9_33
; %bb.29:                               ;   in Loop: Header=BB9_6 Depth=1
	s_cmp_lg_u32 s13, 1
	s_cbranch_scc0 .LBB9_34
; %bb.30:                               ;   in Loop: Header=BB9_6 Depth=1
	s_lshl_b64 s[40:41], s[10:11], 2
	s_and_b32 s22, s13, 0x7ffffffe
	s_add_nc_u64 s[42:43], s[34:35], s[40:41]
	s_mov_b32 s44, 0
	s_mov_b32 s45, s22
	;; [unrolled: 1-line block ×3, first 2 shown]
.LBB9_31:                               ;   Parent Loop BB9_6 Depth=1
                                        ; =>  This Inner Loop Header: Depth=2
	s_load_b64 s[58:59], s[42:43], 0x0
	s_wait_xcnt 0x0
	s_add_nc_u64 s[42:43], s[42:43], 8
	s_wait_kmcnt 0x0
	s_cmp_eq_u32 s58, 1
	s_cselect_b32 s47, -1, 0
	s_cmp_eq_u32 s59, 1
	s_cselect_b32 s57, -1, 0
	s_delay_alu instid0(SALU_CYCLE_1) | instskip(SKIP_4) | instid1(SALU_CYCLE_1)
	s_cmp_lg_u32 s57, 0
	s_add_co_ci_u32 s46, s46, 0
	s_cmp_lg_u32 s47, 0
	s_add_co_ci_u32 s44, s44, 0
	s_add_co_i32 s45, s45, -2
	s_cmp_lg_u32 s45, 0
	s_cbranch_scc1 .LBB9_31
; %bb.32:                               ;   in Loop: Header=BB9_6 Depth=1
	s_add_co_i32 s42, s44, s46
	s_cmp_lg_u32 s13, s22
	s_cselect_b32 s44, -1, 0
	s_mov_b32 s43, s42
	s_branch .LBB9_36
.LBB9_33:                               ;   in Loop: Header=BB9_6 Depth=1
	s_mov_b32 s42, 0
	s_branch .LBB9_40
.LBB9_34:                               ;   in Loop: Header=BB9_6 Depth=1
	s_mov_b32 s44, 0
                                        ; implicit-def: $sgpr42
                                        ; implicit-def: $sgpr40_sgpr41
	s_mov_b32 s43, s42
	s_cbranch_execz .LBB9_36
; %bb.35:                               ;   in Loop: Header=BB9_6 Depth=1
	s_lshl_b64 s[40:41], s[10:11], 2
	s_mov_b32 s44, -1
	s_mov_b32 s43, 0
	s_mov_b32 s22, 0
.LBB9_36:                               ;   in Loop: Header=BB9_6 Depth=1
	s_and_not1_b32 vcc_lo, exec_lo, s44
	s_cbranch_vccnz .LBB9_40
; %bb.37:                               ;   in Loop: Header=BB9_6 Depth=1
	s_lshl_b64 s[44:45], s[22:23], 2
	s_sub_co_i32 s22, s13, s22
	s_add_nc_u64 s[40:41], s[40:41], s[44:45]
	s_delay_alu instid0(SALU_CYCLE_1)
	s_add_nc_u64 s[40:41], s[34:35], s[40:41]
.LBB9_38:                               ;   Parent Loop BB9_6 Depth=1
                                        ; =>  This Inner Loop Header: Depth=2
	s_load_b32 s42, s[40:41], 0x0
	s_wait_xcnt 0x0
	s_add_nc_u64 s[40:41], s[40:41], 4
	s_wait_kmcnt 0x0
	s_cmp_eq_u32 s42, 1
	s_cselect_b32 s42, -1, 0
	s_delay_alu instid0(SALU_CYCLE_1) | instskip(SKIP_2) | instid1(SALU_CYCLE_1)
	s_cmp_lg_u32 s42, 0
	s_add_co_ci_u32 s43, s43, 0
	s_add_co_i32 s22, s22, -1
	s_cmp_eq_u32 s22, 0
	s_cbranch_scc0 .LBB9_38
; %bb.39:                               ;   in Loop: Header=BB9_6 Depth=1
	s_mov_b32 s42, s43
.LBB9_40:                               ;   in Loop: Header=BB9_6 Depth=1
	s_barrier_signal -1
	s_barrier_wait -1
	s_load_b32 s38, s[38:39], 0x8
	s_mul_i32 s22, s36, s56
	s_delay_alu instid0(SALU_CYCLE_1)
	s_sub_co_i32 s22, s33, s22
	s_wait_kmcnt 0x0
	s_cmp_lt_i32 s22, s38
	s_cbranch_scc0 .LBB9_5
; %bb.41:                               ;   in Loop: Header=BB9_6 Depth=1
	s_add_co_i32 s36, s22, s37
	v_cmp_gt_u32_e32 vcc_lo, s42, v0
	s_ashr_i32 s37, s36, 31
	s_delay_alu instid0(SALU_CYCLE_1)
	s_lshl_b64 s[38:39], s[36:37], 2
	s_mov_b32 s37, -1
	s_add_nc_u64 s[38:39], s[24:25], s[38:39]
	s_load_b32 s22, s[38:39], 0x8
	s_wait_kmcnt 0x0
	s_cmp_lg_u32 s22, 1
	s_cbranch_scc1 .LBB9_48
; %bb.42:                               ;   in Loop: Header=BB9_6 Depth=1
	v_mov_b32_e32 v12, 0
	s_and_saveexec_b32 s22, vcc_lo
	s_cbranch_execz .LBB9_46
; %bb.43:                               ;   in Loop: Header=BB9_6 Depth=1
	v_mad_u32 v10, s36, s5, v0
	v_lshl_add_u64 v[8:9], s[10:11], 2, v[4:5]
	v_mov_b32_e32 v13, v0
	s_mov_b64 s[40:41], 0
	s_mov_b32 s37, 0
	s_delay_alu instid0(VALU_DEP_3) | instskip(NEXT) | instid1(VALU_DEP_1)
	v_dual_mov_b32 v12, 0 :: v_dual_ashrrev_i32 v11, 31, v10
	v_lshl_add_u64 v[10:11], v[10:11], 2, s[6:7]
.LBB9_44:                               ;   Parent Loop BB9_6 Depth=1
                                        ; =>  This Inner Loop Header: Depth=2
	v_add_nc_u64_e32 v[14:15], s[40:41], v[8:9]
	s_delay_alu instid0(VALU_DEP_2)
	v_add_nc_u64_e32 v[16:17], s[40:41], v[10:11]
	s_add_nc_u64 s[40:41], s[40:41], s[8:9]
	global_load_b32 v18, v[14:15], off
	global_load_b32 v19, v[16:17], off
	v_add_nc_u32_e32 v13, s48, v13
	s_wait_loadcnt 0x0
	s_wait_xcnt 0x1
	v_div_scale_f32 v14, null, v19, v19, v18
	v_div_scale_f32 v21, vcc_lo, v18, v19, v18
	s_delay_alu instid0(VALU_DEP_2) | instskip(SKIP_1) | instid1(TRANS32_DEP_1)
	v_rcp_f32_e32 v15, v14
	v_nop
	v_fma_f32 v20, -v14, v15, 1.0
	s_delay_alu instid0(VALU_DEP_1) | instskip(NEXT) | instid1(VALU_DEP_1)
	v_fmac_f32_e32 v15, v20, v15
	v_mul_f32_e32 v20, v21, v15
	s_delay_alu instid0(VALU_DEP_1) | instskip(NEXT) | instid1(VALU_DEP_1)
	v_fma_f32 v22, -v14, v20, v21
	v_fmac_f32_e32 v20, v22, v15
	s_delay_alu instid0(VALU_DEP_1) | instskip(NEXT) | instid1(VALU_DEP_1)
	v_fma_f32 v14, -v14, v20, v21
	v_div_fmas_f32 v14, v14, v15, v20
	v_cmp_le_u32_e32 vcc_lo, s42, v13
	s_delay_alu instid0(VALU_DEP_2) | instskip(SKIP_1) | instid1(VALU_DEP_1)
	v_div_fixup_f32 v14, v14, v19, v18
	s_or_b32 s37, vcc_lo, s37
	v_fmac_f32_e32 v12, v14, v14
	global_store_b32 v[16:17], v14, off
	s_wait_xcnt 0x0
	s_and_not1_b32 exec_lo, exec_lo, s37
	s_cbranch_execnz .LBB9_44
; %bb.45:                               ;   in Loop: Header=BB9_6 Depth=1
	s_or_b32 exec_lo, exec_lo, s37
.LBB9_46:                               ;   in Loop: Header=BB9_6 Depth=1
	s_delay_alu instid0(SALU_CYCLE_1) | instskip(NEXT) | instid1(SALU_CYCLE_1)
	s_or_b32 exec_lo, exec_lo, s22
	s_and_not1_b32 vcc_lo, exec_lo, s51
	s_mov_b32 s22, s48
	ds_store_b32 v1, v12
	s_wait_storecnt_dscnt 0x0
	s_barrier_signal -1
	s_barrier_wait -1
	s_cbranch_vccz .LBB9_63
.LBB9_47:                               ;   in Loop: Header=BB9_6 Depth=1
	ds_load_b32 v8, v3
	s_wait_dscnt 0x0
	v_readfirstlane_b32 s22, v8
	v_cmp_gt_f32_e32 vcc_lo, 0xf800000, v8
	s_mul_f32 s37, s22, 0x4f800000
	s_cmp_lt_f32 s22, 0xf800000
	s_delay_alu instid0(SALU_CYCLE_2) | instskip(NEXT) | instid1(SALU_CYCLE_1)
	s_cselect_b32 s22, s37, s22
	v_s_sqrt_f32 s37, s22
	s_mov_b32 s41, s22
	s_mov_b32 s44, s22
	s_delay_alu instid0(TRANS32_DEP_1) | instskip(NEXT) | instid1(SALU_CYCLE_1)
	s_add_co_i32 s40, s37, -1
	s_xor_b32 s43, s40, 0x80000000
	s_delay_alu instid0(SALU_CYCLE_1) | instskip(NEXT) | instid1(SALU_CYCLE_3)
	s_fmac_f32 s41, s43, s37
	s_cmp_le_f32 s41, 0
	s_cselect_b32 s40, s40, s37
	s_add_co_i32 s41, s37, 1
	s_delay_alu instid0(SALU_CYCLE_1) | instskip(NEXT) | instid1(SALU_CYCLE_1)
	s_xor_b32 s43, s41, 0x80000000
	s_fmac_f32 s44, s43, s37
	s_load_b32 s37, s[38:39], 0x8
	s_delay_alu instid0(SALU_CYCLE_2) | instskip(SKIP_2) | instid1(SALU_CYCLE_1)
	s_cmp_gt_f32 s44, 0
	s_wait_xcnt 0x0
	s_cselect_b32 s38, s41, s40
	s_mul_f32 s39, s38, 0x37800000
	s_delay_alu instid0(SALU_CYCLE_3) | instskip(NEXT) | instid1(VALU_DEP_1)
	v_mov_b32_e32 v9, s39
	v_cndmask_b32_e32 v8, s38, v9, vcc_lo
	v_cmp_class_f32_e64 s38, s22, 0x260
	s_wait_kmcnt 0x0
	s_cmp_lg_u32 s37, 1
	s_cselect_b32 s37, -1, 0
	v_cndmask_b32_e64 v12, v8, s22, s38
.LBB9_48:                               ;   in Loop: Header=BB9_6 Depth=1
	s_add_co_i32 s1, s1, s50
	s_delay_alu instid0(SALU_CYCLE_1) | instskip(NEXT) | instid1(SALU_CYCLE_1)
	s_lshl_b32 s1, 1, s1
	s_ashr_i32 s22, s1, 31
	s_delay_alu instid0(SALU_CYCLE_1) | instskip(NEXT) | instid1(SALU_CYCLE_1)
	s_add_co_i32 s1, s1, s22
	s_xor_b32 s1, s1, s22
	s_delay_alu instid0(SALU_CYCLE_1) | instskip(SKIP_1) | instid1(VALU_DEP_1)
	v_cvt_f32_u32_e32 v8, s1
	s_sub_co_i32 s39, 0, s1
	v_rcp_iflag_f32_e32 v8, v8
	v_nop
	s_delay_alu instid0(TRANS32_DEP_1) | instskip(NEXT) | instid1(VALU_DEP_1)
	v_mul_f32_e32 v8, 0x4f7ffffe, v8
	v_cvt_u32_f32_e32 v8, v8
	s_delay_alu instid0(VALU_DEP_1) | instskip(SKIP_1) | instid1(SALU_CYCLE_1)
	v_readfirstlane_b32 s38, v8
	s_mul_i32 s39, s39, s38
	s_mul_hi_u32 s39, s38, s39
	s_delay_alu instid0(SALU_CYCLE_1) | instskip(NEXT) | instid1(SALU_CYCLE_1)
	s_add_co_i32 s38, s38, s39
	s_mul_hi_u32 s38, s55, s38
	s_delay_alu instid0(SALU_CYCLE_1) | instskip(SKIP_2) | instid1(SALU_CYCLE_1)
	s_mul_i32 s39, s38, s1
	s_add_co_i32 s40, s38, 1
	s_sub_co_i32 s39, s55, s39
	s_sub_co_i32 s41, s39, s1
	s_cmp_ge_u32 s39, s1
	s_cselect_b32 s38, s40, s38
	s_cselect_b32 s39, s41, s39
	s_add_co_i32 s40, s38, 1
	s_cmp_ge_u32 s39, s1
	s_cselect_b32 s1, s40, s38
	s_xor_b32 s22, s54, s22
	s_delay_alu instid0(SALU_CYCLE_1) | instskip(NEXT) | instid1(SALU_CYCLE_1)
	s_xor_b32 s1, s1, s22
	s_sub_co_i32 s22, s1, s22
	s_delay_alu instid0(SALU_CYCLE_1) | instskip(SKIP_1) | instid1(SALU_CYCLE_1)
	s_cmp_lt_i32 s22, 0
	s_cselect_b32 s1, -1, 0
	s_or_b32 s1, s37, s1
	s_delay_alu instid0(SALU_CYCLE_1)
	s_and_b32 vcc_lo, exec_lo, s1
	s_cbranch_vccnz .LBB9_5
; %bb.49:                               ;   in Loop: Header=BB9_6 Depth=1
	s_mul_i32 s38, s36, s5
	v_cmp_gt_u32_e64 s1, s42, v0
	v_add_nc_u32_e32 v8, s38, v0
	v_lshl_add_u64 v[10:11], s[10:11], 2, v[6:7]
	s_mov_b32 s11, 0
	s_delay_alu instid0(VALU_DEP_2) | instskip(NEXT) | instid1(VALU_DEP_1)
	v_ashrrev_i32_e32 v9, 31, v8
	v_lshl_add_u64 v[8:9], v[8:9], 2, s[6:7]
	s_branch .LBB9_51
.LBB9_50:                               ;   in Loop: Header=BB9_51 Depth=2
	s_wait_xcnt 0x0
	s_or_b32 exec_lo, exec_lo, s36
	s_add_co_i32 s36, s11, 1
	s_cmp_lg_u32 s11, s22
	s_mov_b32 s11, s36
	s_wait_storecnt 0x0
	s_barrier_signal -1
	s_barrier_wait -1
	s_cbranch_scc0 .LBB9_5
.LBB9_51:                               ;   Parent Loop BB9_6 Depth=1
                                        ; =>  This Loop Header: Depth=2
                                        ;       Child Loop BB9_53 Depth 3
                                        ;       Child Loop BB9_56 Depth 3
	s_add_co_i32 s39, s11, s10
	s_cmp_lt_i32 s11, s13
	v_mov_b32_e32 v13, 0
	s_cselect_b32 s40, -1, 0
	s_delay_alu instid0(SALU_CYCLE_1) | instskip(NEXT) | instid1(SALU_CYCLE_1)
	s_and_b32 s36, s40, s1
	s_and_saveexec_b32 s41, s36
	s_cbranch_execz .LBB9_55
; %bb.52:                               ;   in Loop: Header=BB9_51 Depth=2
	v_dual_mov_b32 v13, 0 :: v_dual_mov_b32 v14, v0
	s_mov_b64 s[36:37], 0
	s_mov_b32 s43, 0
.LBB9_53:                               ;   Parent Loop BB9_6 Depth=1
                                        ;     Parent Loop BB9_51 Depth=2
                                        ; =>    This Inner Loop Header: Depth=3
	v_add_nc_u64_e32 v[16:17], s[36:37], v[10:11]
	s_delay_alu instid0(VALU_DEP_2) | instskip(NEXT) | instid1(VALU_DEP_1)
	v_add_nc_u32_e32 v14, s48, v14
	v_cmp_le_u32_e32 vcc_lo, s42, v14
	global_load_b32 v15, v[16:17], off
	s_wait_xcnt 0x0
	v_add_nc_u64_e32 v[16:17], s[36:37], v[8:9]
	s_add_nc_u64 s[36:37], s[36:37], s[8:9]
	s_or_b32 s43, vcc_lo, s43
	s_wait_loadcnt 0x0
	v_add_nc_u32_e32 v15, s10, v15
	s_delay_alu instid0(VALU_DEP_1)
	v_mad_u32 v15, v15, s15, s39
	global_load_b32 v18, v[16:17], off
	global_load_b32 v19, v15, s[2:3] scale_offset
	s_wait_loadcnt 0x0
	v_fmac_f32_e32 v13, v19, v18
	s_and_not1_b32 exec_lo, exec_lo, s43
	s_cbranch_execnz .LBB9_53
; %bb.54:                               ;   in Loop: Header=BB9_51 Depth=2
	s_or_b32 exec_lo, exec_lo, s43
.LBB9_55:                               ;   in Loop: Header=BB9_51 Depth=2
	s_delay_alu instid0(SALU_CYCLE_1) | instskip(NEXT) | instid1(SALU_CYCLE_1)
	s_or_b32 exec_lo, exec_lo, s41
	s_and_not1_b32 vcc_lo, exec_lo, s51
	s_mov_b32 s36, s48
	ds_store_b32 v1, v13
	s_wait_dscnt 0x0
	s_barrier_signal -1
	s_barrier_wait -1
	s_cbranch_vccnz .LBB9_60
.LBB9_56:                               ;   Parent Loop BB9_6 Depth=1
                                        ;     Parent Loop BB9_51 Depth=2
                                        ; =>    This Inner Loop Header: Depth=3
	s_lshr_b32 s37, s36, 1
	s_delay_alu instid0(SALU_CYCLE_1) | instskip(SKIP_1) | instid1(SALU_CYCLE_1)
	v_cmp_gt_u32_e32 vcc_lo, s37, v0
	s_and_b32 s43, s40, vcc_lo
	s_and_saveexec_b32 s41, s43
	s_cbranch_execz .LBB9_58
; %bb.57:                               ;   in Loop: Header=BB9_56 Depth=3
	v_lshl_add_u32 v14, s37, 2, v1
	ds_load_b32 v14, v14
	s_wait_dscnt 0x0
	v_add_f32_e32 v13, v13, v14
	ds_store_b32 v1, v13
.LBB9_58:                               ;   in Loop: Header=BB9_56 Depth=3
	s_or_b32 exec_lo, exec_lo, s41
	s_cmp_lt_u32 s36, 4
	s_wait_dscnt 0x0
	s_barrier_signal -1
	s_barrier_wait -1
	s_cbranch_scc1 .LBB9_60
; %bb.59:                               ;   in Loop: Header=BB9_56 Depth=3
	s_mov_b32 s36, s37
	s_branch .LBB9_56
.LBB9_60:                               ;   in Loop: Header=BB9_51 Depth=2
	s_and_b32 s37, s0, s40
	s_delay_alu instid0(SALU_CYCLE_1)
	s_and_saveexec_b32 s36, s37
	s_cbranch_execz .LBB9_50
; %bb.61:                               ;   in Loop: Header=BB9_51 Depth=2
	v_div_scale_f32 v14, null, v12, v12, v13
	v_div_scale_f32 v17, vcc_lo, v13, v12, v13
	s_add_co_i32 s37, s39, s38
	v_rcp_f32_e32 v15, v14
	v_nop
	s_delay_alu instid0(TRANS32_DEP_1) | instskip(NEXT) | instid1(VALU_DEP_1)
	v_fma_f32 v16, -v14, v15, 1.0
	v_fmac_f32_e32 v15, v16, v15
	s_delay_alu instid0(VALU_DEP_1) | instskip(NEXT) | instid1(VALU_DEP_1)
	v_mul_f32_e32 v16, v17, v15
	v_fma_f32 v18, -v14, v16, v17
	s_delay_alu instid0(VALU_DEP_1) | instskip(NEXT) | instid1(VALU_DEP_1)
	v_fmac_f32_e32 v16, v18, v15
	v_fma_f32 v14, -v14, v16, v17
	s_delay_alu instid0(VALU_DEP_1) | instskip(NEXT) | instid1(VALU_DEP_1)
	v_div_fmas_f32 v14, v14, v15, v16
	v_div_fixup_f32 v13, v14, v12, v13
	v_mov_b32_e32 v14, s37
	global_store_b32 v14, v13, s[26:27] scale_offset
	s_branch .LBB9_50
.LBB9_62:                               ;   in Loop: Header=BB9_63 Depth=2
	s_or_b32 exec_lo, exec_lo, s40
	s_cmp_lt_u32 s22, 4
	s_mov_b32 s22, s37
	s_wait_dscnt 0x0
	s_barrier_signal -1
	s_barrier_wait -1
	s_cbranch_scc1 .LBB9_47
.LBB9_63:                               ;   Parent Loop BB9_6 Depth=1
                                        ; =>  This Inner Loop Header: Depth=2
	s_lshr_b32 s37, s22, 1
	s_mov_b32 s40, exec_lo
	v_cmpx_gt_u32_e64 s37, v0
	s_cbranch_execz .LBB9_62
; %bb.64:                               ;   in Loop: Header=BB9_63 Depth=2
	v_lshl_add_u32 v8, s37, 2, v1
	ds_load_b32 v8, v8
	s_wait_dscnt 0x0
	v_add_f32_e32 v12, v12, v8
	ds_store_b32 v1, v12
	s_branch .LBB9_62
.LBB9_65:
	s_endpgm
	.section	.rodata,"a",@progbits
	.p2align	6, 0x0
	.amdhsa_kernel _ZN9rocsolver6v33100L26stedcx_mergeVectors_kernelILb0EfEEviiPT0_lS3_lS3_iilS3_S3_Pi
		.amdhsa_group_segment_fixed_size 0
		.amdhsa_private_segment_fixed_size 0
		.amdhsa_kernarg_size 344
		.amdhsa_user_sgpr_count 2
		.amdhsa_user_sgpr_dispatch_ptr 0
		.amdhsa_user_sgpr_queue_ptr 0
		.amdhsa_user_sgpr_kernarg_segment_ptr 1
		.amdhsa_user_sgpr_dispatch_id 0
		.amdhsa_user_sgpr_kernarg_preload_length 0
		.amdhsa_user_sgpr_kernarg_preload_offset 0
		.amdhsa_user_sgpr_private_segment_size 0
		.amdhsa_wavefront_size32 1
		.amdhsa_uses_dynamic_stack 0
		.amdhsa_enable_private_segment 0
		.amdhsa_system_sgpr_workgroup_id_x 1
		.amdhsa_system_sgpr_workgroup_id_y 1
		.amdhsa_system_sgpr_workgroup_id_z 1
		.amdhsa_system_sgpr_workgroup_info 0
		.amdhsa_system_vgpr_workitem_id 0
		.amdhsa_next_free_vgpr 23
		.amdhsa_next_free_sgpr 66
		.amdhsa_named_barrier_count 0
		.amdhsa_reserve_vcc 1
		.amdhsa_float_round_mode_32 0
		.amdhsa_float_round_mode_16_64 0
		.amdhsa_float_denorm_mode_32 3
		.amdhsa_float_denorm_mode_16_64 3
		.amdhsa_fp16_overflow 0
		.amdhsa_memory_ordered 1
		.amdhsa_forward_progress 1
		.amdhsa_inst_pref_size 25
		.amdhsa_round_robin_scheduling 0
		.amdhsa_exception_fp_ieee_invalid_op 0
		.amdhsa_exception_fp_denorm_src 0
		.amdhsa_exception_fp_ieee_div_zero 0
		.amdhsa_exception_fp_ieee_overflow 0
		.amdhsa_exception_fp_ieee_underflow 0
		.amdhsa_exception_fp_ieee_inexact 0
		.amdhsa_exception_int_div_zero 0
	.end_amdhsa_kernel
	.section	.text._ZN9rocsolver6v33100L26stedcx_mergeVectors_kernelILb0EfEEviiPT0_lS3_lS3_iilS3_S3_Pi,"axG",@progbits,_ZN9rocsolver6v33100L26stedcx_mergeVectors_kernelILb0EfEEviiPT0_lS3_lS3_iilS3_S3_Pi,comdat
.Lfunc_end9:
	.size	_ZN9rocsolver6v33100L26stedcx_mergeVectors_kernelILb0EfEEviiPT0_lS3_lS3_iilS3_S3_Pi, .Lfunc_end9-_ZN9rocsolver6v33100L26stedcx_mergeVectors_kernelILb0EfEEviiPT0_lS3_lS3_iilS3_S3_Pi
                                        ; -- End function
	.set _ZN9rocsolver6v33100L26stedcx_mergeVectors_kernelILb0EfEEviiPT0_lS3_lS3_iilS3_S3_Pi.num_vgpr, 23
	.set _ZN9rocsolver6v33100L26stedcx_mergeVectors_kernelILb0EfEEviiPT0_lS3_lS3_iilS3_S3_Pi.num_agpr, 0
	.set _ZN9rocsolver6v33100L26stedcx_mergeVectors_kernelILb0EfEEviiPT0_lS3_lS3_iilS3_S3_Pi.numbered_sgpr, 66
	.set _ZN9rocsolver6v33100L26stedcx_mergeVectors_kernelILb0EfEEviiPT0_lS3_lS3_iilS3_S3_Pi.num_named_barrier, 0
	.set _ZN9rocsolver6v33100L26stedcx_mergeVectors_kernelILb0EfEEviiPT0_lS3_lS3_iilS3_S3_Pi.private_seg_size, 0
	.set _ZN9rocsolver6v33100L26stedcx_mergeVectors_kernelILb0EfEEviiPT0_lS3_lS3_iilS3_S3_Pi.uses_vcc, 1
	.set _ZN9rocsolver6v33100L26stedcx_mergeVectors_kernelILb0EfEEviiPT0_lS3_lS3_iilS3_S3_Pi.uses_flat_scratch, 0
	.set _ZN9rocsolver6v33100L26stedcx_mergeVectors_kernelILb0EfEEviiPT0_lS3_lS3_iilS3_S3_Pi.has_dyn_sized_stack, 0
	.set _ZN9rocsolver6v33100L26stedcx_mergeVectors_kernelILb0EfEEviiPT0_lS3_lS3_iilS3_S3_Pi.has_recursion, 0
	.set _ZN9rocsolver6v33100L26stedcx_mergeVectors_kernelILb0EfEEviiPT0_lS3_lS3_iilS3_S3_Pi.has_indirect_call, 0
	.section	.AMDGPU.csdata,"",@progbits
; Kernel info:
; codeLenInByte = 3144
; TotalNumSgprs: 68
; NumVgprs: 23
; ScratchSize: 0
; MemoryBound: 0
; FloatMode: 240
; IeeeMode: 1
; LDSByteSize: 0 bytes/workgroup (compile time only)
; SGPRBlocks: 0
; VGPRBlocks: 1
; NumSGPRsForWavesPerEU: 68
; NumVGPRsForWavesPerEU: 23
; NamedBarCnt: 0
; Occupancy: 16
; WaveLimiterHint : 1
; COMPUTE_PGM_RSRC2:SCRATCH_EN: 0
; COMPUTE_PGM_RSRC2:USER_SGPR: 2
; COMPUTE_PGM_RSRC2:TRAP_HANDLER: 0
; COMPUTE_PGM_RSRC2:TGID_X_EN: 1
; COMPUTE_PGM_RSRC2:TGID_Y_EN: 1
; COMPUTE_PGM_RSRC2:TGID_Z_EN: 1
; COMPUTE_PGM_RSRC2:TIDIG_COMP_CNT: 0
	.section	.text._ZN9rocsolver6v33100L25stedcx_mergeUpdate_kernelIfEEviiPT_lS3_iilS3_S3_Pi,"axG",@progbits,_ZN9rocsolver6v33100L25stedcx_mergeUpdate_kernelIfEEviiPT_lS3_iilS3_S3_Pi,comdat
	.globl	_ZN9rocsolver6v33100L25stedcx_mergeUpdate_kernelIfEEviiPT_lS3_iilS3_S3_Pi ; -- Begin function _ZN9rocsolver6v33100L25stedcx_mergeUpdate_kernelIfEEviiPT_lS3_iilS3_S3_Pi
	.p2align	8
	.type	_ZN9rocsolver6v33100L25stedcx_mergeUpdate_kernelIfEEviiPT_lS3_iilS3_S3_Pi,@function
_ZN9rocsolver6v33100L25stedcx_mergeUpdate_kernelIfEEviiPT_lS3_iilS3_S3_Pi: ; @_ZN9rocsolver6v33100L25stedcx_mergeUpdate_kernelIfEEviiPT_lS3_iilS3_S3_Pi
; %bb.0:
	s_clause 0x1
	s_load_b128 s[12:15], s[0:1], 0x18
	s_load_b256 s[4:11], s[0:1], 0x28
	s_bfe_u32 s2, ttmp6, 0x40014
	s_lshr_b32 s3, ttmp7, 16
	s_add_co_i32 s2, s2, 1
	s_bfe_u32 s16, ttmp6, 0x40008
	s_mul_i32 s2, s3, s2
	s_getreg_b32 s20, hwreg(HW_REG_IB_STS2, 6, 4)
	s_add_co_i32 s16, s16, s2
	s_cmp_eq_u32 s20, 0
	s_mov_b32 s23, 0
	s_cselect_b32 s22, s3, s16
	s_wait_kmcnt 0x0
	s_cmp_lg_u64 s[12:13], 0
	s_cbranch_scc0 .LBB10_37
; %bb.1:
	s_mul_u64 s[2:3], s[4:5], s[22:23]
	s_ashr_i32 s5, s14, 31
	s_lshl_b64 s[2:3], s[2:3], 2
	s_mov_b32 s4, s14
	s_add_nc_u64 s[2:3], s[12:13], s[2:3]
	s_lshl_b64 s[4:5], s[4:5], 2
	s_delay_alu instid0(SALU_CYCLE_1)
	s_add_nc_u64 s[2:3], s[2:3], s[4:5]
	s_and_not1_b32 vcc_lo, exec_lo, s23
	s_cbranch_vccnz .LBB10_3
.LBB10_2:
	s_mov_b32 s23, 0
                                        ; implicit-def: $sgpr2_sgpr3
.LBB10_3:
	s_load_b64 s[4:5], s[0:1], 0x0
	s_bfe_u32 s12, ttmp6, 0x40010
	s_and_b32 s13, ttmp7, 0xffff
	s_add_co_i32 s12, s12, 1
	s_bfe_u32 s14, ttmp6, 0x40004
	s_mul_i32 s12, s13, s12
	s_mov_b32 s21, 0
	s_add_co_i32 s14, s14, s12
	s_cmp_eq_u32 s20, 0
	s_cselect_b32 s12, s13, s14
	s_wait_kmcnt 0x0
	s_mul_i32 s16, s5, 5
	s_ashr_i32 s19, s5, 31
	s_add_co_i32 s13, s16, 2
	s_mov_b32 s18, s5
	s_mul_i32 s16, s13, s22
	s_lshl_b64 s[34:35], s[18:19], 2
	s_ashr_i32 s17, s16, 31
	s_delay_alu instid0(SALU_CYCLE_1) | instskip(NEXT) | instid1(SALU_CYCLE_1)
	s_lshl_b64 s[30:31], s[16:17], 2
	s_add_nc_u64 s[16:17], s[10:11], s[30:31]
	s_delay_alu instid0(SALU_CYCLE_1)
	s_add_nc_u64 s[18:19], s[16:17], s[34:35]
	s_load_b32 s14, s[18:19], 0x4
	s_wait_kmcnt 0x0
	s_cmp_ge_i32 s12, s14
	s_cbranch_scc1 .LBB10_36
; %bb.4:
	s_clause 0x1
	s_load_b128 s[24:27], s[0:1], 0x8
	s_load_b32 s13, s[0:1], 0x54
	s_wait_xcnt 0x0
	s_mul_i32 s0, s22, s5
	s_bfe_u32 s1, ttmp6, 0x4000c
	s_lshl_b32 s0, s0, 1
	s_add_co_i32 s28, s1, 1
	s_ashr_i32 s1, s0, 31
	s_and_b32 s33, ttmp6, 15
	s_mul_i32 s36, s0, s5
	s_mul_i32 s38, ttmp9, s28
	s_lshl_b64 s[28:29], s[0:1], 2
	s_ashr_i32 s37, s36, 31
	s_add_co_i32 s33, s33, s38
	s_add_nc_u64 s[30:31], s[34:35], s[30:31]
	s_delay_alu instid0(SALU_CYCLE_1)
	s_add_nc_u64 s[10:11], s[10:11], s[30:31]
	s_mov_b32 s31, s21
	s_add_nc_u64 s[10:11], s[10:11], 8
	s_wait_kmcnt 0x0
	s_mul_u64 s[0:1], s[26:27], s[22:23]
	s_add_nc_u64 s[26:27], s[6:7], s[28:29]
	s_lshl_b64 s[0:1], s[0:1], 2
	s_cmp_eq_u32 s20, 0
	s_add_nc_u64 s[22:23], s[24:25], s[0:1]
	s_cselect_b32 s1, ttmp9, s33
	s_lshl_b32 s33, 2, s4
	s_add_nc_u64 s[24:25], s[18:19], s[34:35]
	v_cvt_f32_u32_e32 v1, s33
	v_cmp_eq_u32_e64 s0, 0, v0
	s_add_nc_u64 s[6:7], s[24:25], s[34:35]
	s_add_nc_u64 s[26:27], s[26:27], s[34:35]
	s_and_b32 s44, 0xffff, s13
	v_rcp_iflag_f32_e32 v1, v1
	s_lshl_b64 s[34:35], s[36:37], 2
	s_ashr_i32 s45, s1, 31
	s_abs_i32 s28, s1
	s_mov_b32 s29, s21
	s_lshl_b32 s30, s44, 2
	s_add_nc_u64 s[8:9], s[8:9], s[34:35]
	v_nop
	v_dual_mul_f32 v2, 0x4f7ffffe, v1 :: v_dual_mov_b32 v1, 0
	s_sub_co_i32 s46, 0, s33
	s_delay_alu instid0(VALU_DEP_1)
	v_cvt_u32_f32_e32 v6, v2
	s_branch .LBB10_7
.LBB10_5:                               ;   in Loop: Header=BB10_7 Depth=1
	s_or_b32 exec_lo, exec_lo, s13
.LBB10_6:                               ;   in Loop: Header=BB10_7 Depth=1
	s_add_co_i32 s12, s12, 8
	s_delay_alu instid0(SALU_CYCLE_1)
	s_cmp_ge_i32 s12, s14
	s_cbranch_scc1 .LBB10_36
.LBB10_7:                               ; =>This Loop Header: Depth=1
                                        ;     Child Loop BB10_16 Depth 2
                                        ;     Child Loop BB10_20 Depth 2
	;; [unrolled: 1-line block ×5, first 2 shown]
	s_ashr_i32 s13, s12, 31
	s_delay_alu instid0(SALU_CYCLE_1)
	s_lshl_b64 s[34:35], s[12:13], 2
	s_barrier_signal -1
	s_add_nc_u64 s[34:35], s[16:17], s[34:35]
	s_barrier_wait -1
	s_wait_loadcnt 0x0
	global_load_b64 v[2:3], v1, s[34:35]
	s_mov_b32 s20, 0
	s_wait_loadcnt 0x0
	s_wait_xcnt 0x0
	v_readfirstlane_b32 s34, v2
	v_readfirstlane_b32 s13, v3
	s_sub_co_i32 s13, s13, s34
	s_delay_alu instid0(SALU_CYCLE_1)
	s_cmp_lt_i32 s13, 3
	s_cbranch_scc1 .LBB10_12
; %bb.8:                                ;   in Loop: Header=BB10_7 Depth=1
	s_cmp_lt_u32 s13, 5
	s_mov_b32 s20, 1
	s_cbranch_scc1 .LBB10_12
; %bb.9:                                ;   in Loop: Header=BB10_7 Depth=1
	s_cmp_lt_u32 s13, 33
	s_mov_b32 s20, 2
	s_cbranch_scc1 .LBB10_12
; %bb.10:                               ;   in Loop: Header=BB10_7 Depth=1
	s_cmp_lt_u32 s13, 0xe9
	s_mov_b32 s20, 4
	s_cbranch_scc1 .LBB10_12
; %bb.11:                               ;   in Loop: Header=BB10_7 Depth=1
	s_cmp_lt_u32 s13, 0x128
	s_cselect_b32 s20, 5, 7
	s_cmp_lt_u32 s13, 0x79b
	s_cselect_b32 s20, s20, 8
.LBB10_12:                              ;   in Loop: Header=BB10_7 Depth=1
	s_delay_alu instid0(SALU_CYCLE_1) | instskip(SKIP_4) | instid1(SALU_CYCLE_1)
	s_lshl_b32 s35, 1, s20
	s_add_co_i32 s13, s13, -1
	v_cvt_f32_u32_e32 v2, s35
	s_sub_co_i32 s37, 0, s35
	s_ashr_i32 s38, s13, 31
	s_add_co_i32 s13, s13, s38
	s_delay_alu instid0(VALU_DEP_1) | instskip(SKIP_2) | instid1(TRANS32_DEP_1)
	v_rcp_iflag_f32_e32 v2, v2
	s_xor_b32 s13, s13, s38
	v_nop
	v_mul_f32_e32 v2, 0x4f7ffffe, v2
	s_delay_alu instid0(VALU_DEP_1) | instskip(NEXT) | instid1(VALU_DEP_1)
	v_cvt_u32_f32_e32 v2, v2
	v_readfirstlane_b32 s36, v2
	s_mul_i32 s37, s37, s36
	s_delay_alu instid0(SALU_CYCLE_1) | instskip(NEXT) | instid1(SALU_CYCLE_1)
	s_mul_hi_u32 s37, s36, s37
	s_add_co_i32 s36, s36, s37
	s_delay_alu instid0(SALU_CYCLE_1) | instskip(NEXT) | instid1(SALU_CYCLE_1)
	s_mul_hi_u32 s36, s13, s36
	s_mul_i32 s37, s36, s35
	s_delay_alu instid0(SALU_CYCLE_1)
	s_sub_co_i32 s13, s13, s37
	s_add_co_i32 s37, s36, 1
	s_sub_co_i32 s39, s13, s35
	s_cmp_ge_u32 s13, s35
	s_cselect_b32 s36, s37, s36
	s_cselect_b32 s13, s39, s13
	s_add_co_i32 s37, s36, 1
	s_cmp_ge_u32 s13, s35
	s_cselect_b32 s13, s37, s36
	s_delay_alu instid0(SALU_CYCLE_1) | instskip(NEXT) | instid1(SALU_CYCLE_1)
	s_xor_b32 s13, s13, s38
	s_sub_co_i32 s13, s13, s38
	s_delay_alu instid0(SALU_CYCLE_1) | instskip(NEXT) | instid1(SALU_CYCLE_1)
	s_add_co_i32 s13, s13, 1
	s_lshl_b32 s35, s13, s20
	s_delay_alu instid0(SALU_CYCLE_1) | instskip(SKIP_3) | instid1(SALU_CYCLE_1)
	s_cmp_ge_i32 s1, s35
	s_cselect_b32 s35, -1, 0
	s_cmp_ge_i32 s4, s20
	s_cselect_b32 s20, -1, 0
	s_or_b32 s20, s20, s35
	s_delay_alu instid0(SALU_CYCLE_1)
	s_and_b32 vcc_lo, exec_lo, s20
	s_cbranch_vccnz .LBB10_6
; %bb.13:                               ;   in Loop: Header=BB10_7 Depth=1
	s_abs_i32 s40, s13
	s_ashr_i32 s41, s13, 31
	s_cvt_f32_u32 s20, s40
	s_sub_co_i32 s35, 0, s40
	s_delay_alu instid0(SALU_CYCLE_2) | instskip(SKIP_1) | instid1(TRANS32_DEP_1)
	v_rcp_iflag_f32_e32 v2, s20
	v_nop
	v_readfirstlane_b32 s20, v2
	s_mul_f32 s20, s20, 0x4f7ffffe
	s_delay_alu instid0(SALU_CYCLE_3) | instskip(NEXT) | instid1(SALU_CYCLE_3)
	s_cvt_u32_f32 s20, s20
	s_mul_i32 s35, s35, s20
	s_delay_alu instid0(SALU_CYCLE_1)
	s_mul_hi_u32 s36, s20, s35
	s_ashr_i32 s35, s34, 31
	s_add_co_i32 s20, s20, s36
	s_lshl_b64 s[36:37], s[34:35], 2
	s_mul_u64 s[38:39], s[28:29], s[20:21]
	s_xor_b32 s34, s45, s41
	s_mul_i32 s20, s39, s40
	s_add_co_i32 s35, s39, 1
	s_sub_co_i32 s20, s28, s20
	s_add_nc_u64 s[48:49], s[24:25], s[36:37]
	s_sub_co_i32 s38, s20, s40
	s_cmp_ge_u32 s20, s40
	s_cselect_b32 s35, s35, s39
	s_cselect_b32 s20, s38, s20
	s_add_co_i32 s38, s35, 1
	s_cmp_ge_u32 s20, s40
	v_readfirstlane_b32 s20, v6
	s_cselect_b32 s35, s38, s35
	s_delay_alu instid0(SALU_CYCLE_1)
	s_xor_b32 s35, s35, s34
	s_mul_i32 s38, s46, s20
	s_sub_co_i32 s34, s35, s34
	s_mul_hi_u32 s38, s20, s38
	s_ashr_i32 s35, s34, 31
	s_add_co_i32 s20, s20, s38
	s_add_co_i32 s39, s34, s35
	v_mov_b32_e32 v7, s34
	s_xor_b32 s38, s39, s35
	s_delay_alu instid0(SALU_CYCLE_1) | instskip(NEXT) | instid1(SALU_CYCLE_1)
	s_mul_hi_u32 s20, s38, s20
	s_mul_i32 s20, s20, s33
	s_delay_alu instid0(SALU_CYCLE_1) | instskip(SKIP_4) | instid1(SALU_CYCLE_1)
	s_sub_co_i32 s20, s38, s20
	s_lshl_b64 s[38:39], s[34:35], 2
	s_sub_co_i32 s40, s20, s33
	s_cmp_ge_u32 s20, s33
	s_cselect_b32 s20, s40, s20
	s_sub_co_i32 s40, s20, s33
	s_cmp_ge_u32 s20, s33
	s_cselect_b32 s20, s40, s20
	s_add_nc_u64 s[40:41], s[18:19], s[36:37]
	s_xor_b32 s20, s20, s35
	s_delay_alu instid0(SALU_CYCLE_1) | instskip(NEXT) | instid1(SALU_CYCLE_1)
	s_sub_co_i32 s35, s20, s35
	s_sub_co_i32 s42, s34, s35
	s_cmp_lt_i32 s35, 1
	v_mov_b32_e32 v5, s42
	s_clause 0x2
	global_load_b32 v4, v5, s[48:49] offset:8 scale_offset
	global_load_b32 v3, v7, s[40:41] offset:8 scale_offset
	;; [unrolled: 1-line block ×3, first 2 shown]
	s_wait_loadcnt 0x1
	s_wait_xcnt 0x2
	v_mov_b32_e32 v5, v3
	s_cbranch_scc1 .LBB10_21
; %bb.14:                               ;   in Loop: Header=BB10_7 Depth=1
	s_cmp_lt_u32 s35, 4
	s_cbranch_scc1 .LBB10_18
; %bb.15:                               ;   in Loop: Header=BB10_7 Depth=1
	v_dual_mov_b32 v5, 0 :: v_dual_mov_b32 v8, 0
	s_wait_xcnt 0x0
	v_dual_mov_b32 v7, 0 :: v_dual_mov_b32 v9, v3
	s_and_b32 s47, s35, 0x7ffffffc
	s_delay_alu instid0(SALU_CYCLE_1)
	s_mov_b32 s20, s47
.LBB10_16:                              ;   Parent Loop BB10_7 Depth=1
                                        ; =>  This Inner Loop Header: Depth=2
	s_ashr_i32 s43, s42, 31
	s_add_co_i32 s20, s20, -4
	s_wait_xcnt 0x0
	s_lshl_b64 s[48:49], s[42:43], 2
	s_add_co_i32 s42, s42, 4
	s_add_nc_u64 s[48:49], s[40:41], s[48:49]
	s_cmp_lg_u32 s20, 0
	global_load_b128 v[10:13], v1, s[48:49] offset:8
	s_wait_loadcnt 0x0
	v_dual_add_nc_u32 v5, v11, v5 :: v_dual_add_nc_u32 v8, v13, v8
	v_dual_add_nc_u32 v9, v10, v9 :: v_dual_add_nc_u32 v7, v12, v7
	s_cbranch_scc1 .LBB10_16
; %bb.17:                               ;   in Loop: Header=BB10_7 Depth=1
	s_delay_alu instid0(VALU_DEP_2) | instskip(NEXT) | instid1(VALU_DEP_2)
	v_add_nc_u32_e32 v5, v8, v5
	v_add_nc_u32_e32 v7, v7, v9
	s_and_b32 s20, s35, 3
	s_cmp_lg_u32 s35, s47
	s_cselect_b32 s42, -1, 0
	s_delay_alu instid0(VALU_DEP_1)
	v_add_nc_u32_e32 v5, v7, v5
	s_and_b32 vcc_lo, exec_lo, s42
	s_cbranch_vccnz .LBB10_19
	s_branch .LBB10_21
.LBB10_18:                              ;   in Loop: Header=BB10_7 Depth=1
	v_mov_b32_e32 v5, v3
	s_mov_b32 s20, s35
	s_cbranch_execz .LBB10_21
.LBB10_19:                              ;   in Loop: Header=BB10_7 Depth=1
	s_add_nc_u64 s[42:43], s[36:37], s[38:39]
	s_wait_xcnt 0x0
	s_lshl_b64 s[48:49], s[20:21], 2
	s_add_co_i32 s20, s20, 1
	s_sub_nc_u64 s[42:43], s[42:43], s[48:49]
	s_delay_alu instid0(SALU_CYCLE_1)
	s_add_nc_u64 s[42:43], s[10:11], s[42:43]
.LBB10_20:                              ;   Parent Loop BB10_7 Depth=1
                                        ; =>  This Inner Loop Header: Depth=2
	global_load_b32 v7, v1, s[42:43]
	s_add_co_i32 s20, s20, -1
	s_wait_xcnt 0x0
	s_add_nc_u64 s[42:43], s[42:43], 4
	s_cmp_lt_u32 s20, 2
	s_wait_loadcnt 0x0
	v_add_nc_u32_e32 v5, v7, v5
	s_cbranch_scc0 .LBB10_20
.LBB10_21:                              ;   in Loop: Header=BB10_7 Depth=1
	s_not_b32 s20, s35
	s_delay_alu instid0(SALU_CYCLE_1) | instskip(NEXT) | instid1(SALU_CYCLE_1)
	s_add_co_i32 s20, s33, s20
	s_cmp_lt_i32 s20, 1
	s_cbranch_scc1 .LBB10_29
; %bb.22:                               ;   in Loop: Header=BB10_7 Depth=1
	s_cmp_lt_u32 s20, 4
	s_cbranch_scc1 .LBB10_26
; %bb.23:                               ;   in Loop: Header=BB10_7 Depth=1
	s_wait_xcnt 0x0
	v_dual_mov_b32 v7, 0 :: v_dual_mov_b32 v9, 0
	v_mov_b32_e32 v8, 0
	s_and_b32 s35, s20, 0x7ffffffc
	s_add_nc_u64 s[40:41], s[40:41], s[38:39]
	s_mov_b32 s42, s20
	s_mov_b32 s47, s35
.LBB10_24:                              ;   Parent Loop BB10_7 Depth=1
                                        ; =>  This Inner Loop Header: Depth=2
	s_ashr_i32 s43, s42, 31
	s_add_co_i32 s47, s47, -4
	s_wait_xcnt 0x0
	s_lshl_b64 s[48:49], s[42:43], 2
	s_add_co_i32 s42, s42, -4
	s_add_nc_u64 s[48:49], s[40:41], s[48:49]
	s_cmp_lg_u32 s47, 0
	global_load_b128 v[10:13], v1, s[48:49] offset:-4
	s_wait_loadcnt 0x0
	v_dual_add_nc_u32 v7, v12, v7 :: v_dual_add_nc_u32 v5, v13, v5
	v_dual_add_nc_u32 v9, v10, v9 :: v_dual_add_nc_u32 v8, v11, v8
	s_cbranch_scc1 .LBB10_24
; %bb.25:                               ;   in Loop: Header=BB10_7 Depth=1
	s_delay_alu instid0(VALU_DEP_1)
	v_dual_add_nc_u32 v7, v9, v7 :: v_dual_add_nc_u32 v5, v8, v5
	s_and_b32 s40, s20, 3
	s_cmp_lg_u32 s20, s35
	s_mov_b32 s20, s40
	s_cselect_b32 s35, -1, 0
	v_add_nc_u32_e32 v5, v5, v7
	s_and_b32 vcc_lo, exec_lo, s35
	s_cbranch_vccnz .LBB10_27
	s_branch .LBB10_29
.LBB10_26:                              ;   in Loop: Header=BB10_7 Depth=1
	s_cbranch_execz .LBB10_29
.LBB10_27:                              ;   in Loop: Header=BB10_7 Depth=1
	s_add_nc_u64 s[36:37], s[36:37], s[38:39]
	s_lshl_b64 s[38:39], s[20:21], 2
	s_add_co_i32 s20, s20, 1
	s_add_nc_u64 s[36:37], s[36:37], s[38:39]
	s_delay_alu instid0(SALU_CYCLE_1)
	s_add_nc_u64 s[36:37], s[10:11], s[36:37]
.LBB10_28:                              ;   Parent Loop BB10_7 Depth=1
                                        ; =>  This Inner Loop Header: Depth=2
	global_load_b32 v7, v1, s[36:37]
	s_add_co_i32 s20, s20, -1
	s_wait_xcnt 0x0
	s_add_nc_u64 s[36:37], s[36:37], -4
	s_cmp_lt_u32 s20, 2
	s_wait_loadcnt 0x0
	v_add_nc_u32_e32 v5, v7, v5
	s_cbranch_scc0 .LBB10_28
.LBB10_29:                              ;   in Loop: Header=BB10_7 Depth=1
	s_mul_i32 s13, s34, s13
	s_delay_alu instid0(SALU_CYCLE_1) | instskip(NEXT) | instid1(SALU_CYCLE_1)
	s_sub_co_i32 s13, s1, s13
	v_cmp_lt_i32_e32 vcc_lo, s13, v3
	s_cbranch_vccz .LBB10_6
; %bb.30:                               ;   in Loop: Header=BB10_7 Depth=1
	s_wait_loadcnt 0x0
	v_add_nc_u32_e32 v2, s13, v2
	global_load_b32 v3, v2, s[6:7] offset:8 scale_offset
	s_wait_loadcnt 0x0
	v_cmp_ne_u32_e32 vcc_lo, 1, v3
	s_cbranch_vccnz .LBB10_6
; %bb.31:                               ;   in Loop: Header=BB10_7 Depth=1
	v_ashrrev_i32_e32 v3, 31, v2
	s_wait_xcnt 0x0
	s_and_saveexec_b32 s13, s0
	s_cbranch_execz .LBB10_33
; %bb.32:                               ;   in Loop: Header=BB10_7 Depth=1
	s_delay_alu instid0(VALU_DEP_1) | instskip(NEXT) | instid1(VALU_DEP_1)
	v_lshlrev_b64_e32 v[8:9], 2, v[2:3]
	v_add_nc_u64_e32 v[10:11], s[26:27], v[8:9]
	v_add_nc_u64_e32 v[8:9], s[22:23], v[8:9]
	global_load_b32 v3, v[10:11], off
	s_wait_loadcnt 0x0
	global_store_b32 v[8:9], v3, off
.LBB10_33:                              ;   in Loop: Header=BB10_7 Depth=1
	s_wait_xcnt 0x0
	s_or_b32 exec_lo, exec_lo, s13
	s_delay_alu instid0(SALU_CYCLE_1)
	s_mov_b32 s13, exec_lo
	v_cmpx_lt_i32_e64 v0, v5
	s_cbranch_execz .LBB10_5
; %bb.34:                               ;   in Loop: Header=BB10_7 Depth=1
	v_add_nc_u32_e32 v7, v4, v0
	v_add_nc_u32_e32 v8, v5, v4
	s_mov_b64 s[34:35], 0
	s_mov_b32 s20, 0
	s_delay_alu instid0(VALU_DEP_2) | instskip(NEXT) | instid1(VALU_DEP_1)
	v_mad_u32 v10, v2, s15, v7
	v_ashrrev_i32_e32 v11, 31, v10
	v_mad_u32 v12, v2, s5, v7
	s_delay_alu instid0(VALU_DEP_2) | instskip(NEXT) | instid1(VALU_DEP_2)
	v_lshl_add_u64 v[2:3], v[10:11], 2, s[2:3]
	v_ashrrev_i32_e32 v13, 31, v12
	s_delay_alu instid0(VALU_DEP_1)
	v_lshl_add_u64 v[4:5], v[12:13], 2, s[8:9]
.LBB10_35:                              ;   Parent Loop BB10_7 Depth=1
                                        ; =>  This Inner Loop Header: Depth=2
	s_delay_alu instid0(VALU_DEP_1) | instskip(SKIP_1) | instid1(VALU_DEP_1)
	v_add_nc_u64_e32 v[10:11], s[34:35], v[4:5]
	v_add_nc_u32_e32 v7, s44, v7
	v_cmp_ge_i32_e32 vcc_lo, v7, v8
	global_load_b32 v9, v[10:11], off
	s_wait_xcnt 0x0
	v_add_nc_u64_e32 v[10:11], s[34:35], v[2:3]
	s_add_nc_u64 s[34:35], s[34:35], s[30:31]
	s_or_b32 s20, vcc_lo, s20
	s_wait_loadcnt 0x0
	global_store_b32 v[10:11], v9, off
	s_wait_xcnt 0x0
	s_and_not1_b32 exec_lo, exec_lo, s20
	s_cbranch_execnz .LBB10_35
	s_branch .LBB10_5
.LBB10_36:
	s_endpgm
.LBB10_37:
	s_mov_b32 s23, -1
                                        ; implicit-def: $sgpr2_sgpr3
	s_branch .LBB10_2
	.section	.rodata,"a",@progbits
	.p2align	6, 0x0
	.amdhsa_kernel _ZN9rocsolver6v33100L25stedcx_mergeUpdate_kernelIfEEviiPT_lS3_iilS3_S3_Pi
		.amdhsa_group_segment_fixed_size 0
		.amdhsa_private_segment_fixed_size 0
		.amdhsa_kernarg_size 328
		.amdhsa_user_sgpr_count 2
		.amdhsa_user_sgpr_dispatch_ptr 0
		.amdhsa_user_sgpr_queue_ptr 0
		.amdhsa_user_sgpr_kernarg_segment_ptr 1
		.amdhsa_user_sgpr_dispatch_id 0
		.amdhsa_user_sgpr_kernarg_preload_length 0
		.amdhsa_user_sgpr_kernarg_preload_offset 0
		.amdhsa_user_sgpr_private_segment_size 0
		.amdhsa_wavefront_size32 1
		.amdhsa_uses_dynamic_stack 0
		.amdhsa_enable_private_segment 0
		.amdhsa_system_sgpr_workgroup_id_x 1
		.amdhsa_system_sgpr_workgroup_id_y 1
		.amdhsa_system_sgpr_workgroup_id_z 1
		.amdhsa_system_sgpr_workgroup_info 0
		.amdhsa_system_vgpr_workitem_id 0
		.amdhsa_next_free_vgpr 14
		.amdhsa_next_free_sgpr 50
		.amdhsa_named_barrier_count 0
		.amdhsa_reserve_vcc 1
		.amdhsa_float_round_mode_32 0
		.amdhsa_float_round_mode_16_64 0
		.amdhsa_float_denorm_mode_32 3
		.amdhsa_float_denorm_mode_16_64 3
		.amdhsa_fp16_overflow 0
		.amdhsa_memory_ordered 1
		.amdhsa_forward_progress 1
		.amdhsa_inst_pref_size 15
		.amdhsa_round_robin_scheduling 0
		.amdhsa_exception_fp_ieee_invalid_op 0
		.amdhsa_exception_fp_denorm_src 0
		.amdhsa_exception_fp_ieee_div_zero 0
		.amdhsa_exception_fp_ieee_overflow 0
		.amdhsa_exception_fp_ieee_underflow 0
		.amdhsa_exception_fp_ieee_inexact 0
		.amdhsa_exception_int_div_zero 0
	.end_amdhsa_kernel
	.section	.text._ZN9rocsolver6v33100L25stedcx_mergeUpdate_kernelIfEEviiPT_lS3_iilS3_S3_Pi,"axG",@progbits,_ZN9rocsolver6v33100L25stedcx_mergeUpdate_kernelIfEEviiPT_lS3_iilS3_S3_Pi,comdat
.Lfunc_end10:
	.size	_ZN9rocsolver6v33100L25stedcx_mergeUpdate_kernelIfEEviiPT_lS3_iilS3_S3_Pi, .Lfunc_end10-_ZN9rocsolver6v33100L25stedcx_mergeUpdate_kernelIfEEviiPT_lS3_iilS3_S3_Pi
                                        ; -- End function
	.set _ZN9rocsolver6v33100L25stedcx_mergeUpdate_kernelIfEEviiPT_lS3_iilS3_S3_Pi.num_vgpr, 14
	.set _ZN9rocsolver6v33100L25stedcx_mergeUpdate_kernelIfEEviiPT_lS3_iilS3_S3_Pi.num_agpr, 0
	.set _ZN9rocsolver6v33100L25stedcx_mergeUpdate_kernelIfEEviiPT_lS3_iilS3_S3_Pi.numbered_sgpr, 50
	.set _ZN9rocsolver6v33100L25stedcx_mergeUpdate_kernelIfEEviiPT_lS3_iilS3_S3_Pi.num_named_barrier, 0
	.set _ZN9rocsolver6v33100L25stedcx_mergeUpdate_kernelIfEEviiPT_lS3_iilS3_S3_Pi.private_seg_size, 0
	.set _ZN9rocsolver6v33100L25stedcx_mergeUpdate_kernelIfEEviiPT_lS3_iilS3_S3_Pi.uses_vcc, 1
	.set _ZN9rocsolver6v33100L25stedcx_mergeUpdate_kernelIfEEviiPT_lS3_iilS3_S3_Pi.uses_flat_scratch, 0
	.set _ZN9rocsolver6v33100L25stedcx_mergeUpdate_kernelIfEEviiPT_lS3_iilS3_S3_Pi.has_dyn_sized_stack, 0
	.set _ZN9rocsolver6v33100L25stedcx_mergeUpdate_kernelIfEEviiPT_lS3_iilS3_S3_Pi.has_recursion, 0
	.set _ZN9rocsolver6v33100L25stedcx_mergeUpdate_kernelIfEEviiPT_lS3_iilS3_S3_Pi.has_indirect_call, 0
	.section	.AMDGPU.csdata,"",@progbits
; Kernel info:
; codeLenInByte = 1916
; TotalNumSgprs: 52
; NumVgprs: 14
; ScratchSize: 0
; MemoryBound: 0
; FloatMode: 240
; IeeeMode: 1
; LDSByteSize: 0 bytes/workgroup (compile time only)
; SGPRBlocks: 0
; VGPRBlocks: 0
; NumSGPRsForWavesPerEU: 52
; NumVGPRsForWavesPerEU: 14
; NamedBarCnt: 0
; Occupancy: 16
; WaveLimiterHint : 1
; COMPUTE_PGM_RSRC2:SCRATCH_EN: 0
; COMPUTE_PGM_RSRC2:USER_SGPR: 2
; COMPUTE_PGM_RSRC2:TRAP_HANDLER: 0
; COMPUTE_PGM_RSRC2:TGID_X_EN: 1
; COMPUTE_PGM_RSRC2:TGID_Y_EN: 1
; COMPUTE_PGM_RSRC2:TGID_Z_EN: 1
; COMPUTE_PGM_RSRC2:TIDIG_COMP_CNT: 0
	.section	.text._ZN9rocsolver6v33100L23stedcx_synthesis_kernelIfEEv15rocblas_erange_iiiPT_lPiS4_lS4_iliS5_S4_S3_,"axG",@progbits,_ZN9rocsolver6v33100L23stedcx_synthesis_kernelIfEEv15rocblas_erange_iiiPT_lPiS4_lS4_iliS5_S4_S3_,comdat
	.globl	_ZN9rocsolver6v33100L23stedcx_synthesis_kernelIfEEv15rocblas_erange_iiiPT_lPiS4_lS4_iliS5_S4_S3_ ; -- Begin function _ZN9rocsolver6v33100L23stedcx_synthesis_kernelIfEEv15rocblas_erange_iiiPT_lPiS4_lS4_iliS5_S4_S3_
	.p2align	8
	.type	_ZN9rocsolver6v33100L23stedcx_synthesis_kernelIfEEv15rocblas_erange_iiiPT_lPiS4_lS4_iliS5_S4_S3_,@function
_ZN9rocsolver6v33100L23stedcx_synthesis_kernelIfEEv15rocblas_erange_iiiPT_lPiS4_lS4_iliS5_S4_S3_: ; @_ZN9rocsolver6v33100L23stedcx_synthesis_kernelIfEEv15rocblas_erange_iiiPT_lPiS4_lS4_iliS5_S4_S3_
; %bb.0:
	s_clause 0x3
	s_load_b128 s[4:7], s[0:1], 0x0
	s_load_b32 s12, s[0:1], 0x7c
	s_load_b256 s[24:31], s[0:1], 0x10
	s_load_b128 s[8:11], s[0:1], 0x30
	s_bfe_u32 s2, ttmp6, 0x40010
	s_bfe_u32 s3, ttmp6, 0x40004
	s_add_co_i32 s2, s2, 1
	s_getreg_b32 s13, hwreg(HW_REG_IB_STS2, 6, 4)
	s_mul_i32 s2, ttmp7, s2
	s_delay_alu instid0(SALU_CYCLE_1) | instskip(SKIP_2) | instid1(SALU_CYCLE_1)
	s_add_co_i32 s3, s3, s2
	s_cmp_eq_u32 s13, 0
	s_cselect_b32 s22, ttmp7, s3
	s_ashr_i32 s23, s22, 31
	s_delay_alu instid0(SALU_CYCLE_1)
	s_lshl_b64 s[2:3], s[22:23], 2
	s_wait_kmcnt 0x0
	s_and_b32 s33, s12, 0xffff
	s_mul_u64 s[12:13], s[26:27], s[22:23]
	s_mul_u64 s[8:9], s[8:9], s[22:23]
	s_add_nc_u64 s[18:19], s[28:29], s[2:3]
	s_lshl_b64 s[2:3], s[12:13], 2
	s_lshl_b64 s[12:13], s[8:9], 2
	s_cmp_lg_u32 s4, 0xe7
	s_add_nc_u64 s[8:9], s[24:25], s[2:3]
	s_add_nc_u64 s[16:17], s[30:31], s[12:13]
	s_mov_b32 s2, -1
	s_cbranch_scc0 .LBB11_52
; %bb.1:
	s_load_b128 s[12:15], s[0:1], 0x58
	s_mul_i32 s2, s5, 5
	s_mov_b32 s38, s5
	s_add_co_i32 s2, s2, 2
	s_ashr_i32 s39, s5, 31
	s_mul_i32 s2, s2, s22
	s_lshl_b32 s20, s5, 1
	s_ashr_i32 s3, s2, 31
	s_lshl_b64 s[24:25], s[38:39], 2
	s_lshl_b64 s[40:41], s[2:3], 2
	s_ashr_i32 s21, s20, 31
	s_mov_b32 s46, exec_lo
	s_lshl_b64 s[42:43], s[20:21], 2
	s_wait_kmcnt 0x0
	s_add_nc_u64 s[2:3], s[12:13], s[40:41]
	s_delay_alu instid0(SALU_CYCLE_1) | instskip(NEXT) | instid1(SALU_CYCLE_1)
	s_add_nc_u64 s[26:27], s[2:3], s[24:25]
	s_add_nc_u64 s[20:21], s[26:27], s[42:43]
	v_cmpx_eq_u32_e32 0, v0
	s_cbranch_execz .LBB11_43
; %bb.2:
	s_lshl_b32 s47, s5, 2
	s_mov_b32 s44, 0
	s_or_b32 s2, s47, 2
	s_delay_alu instid0(SALU_CYCLE_1) | instskip(NEXT) | instid1(SALU_CYCLE_1)
	s_mul_i32 s2, s2, s22
	s_ashr_i32 s3, s2, 31
	s_delay_alu instid0(SALU_CYCLE_1)
	s_lshl_b64 s[2:3], s[2:3], 2
	s_cmp_gt_i32 s5, 0
	s_add_nc_u64 s[28:29], s[14:15], s[2:3]
	s_cselect_b32 s3, -1, 0
	s_load_b64 s[30:31], s[28:29], 0x0
	s_cmp_eq_u32 s4, 0xe9
	s_cbranch_scc1 .LBB11_8
; %bb.3:
	s_and_not1_b32 vcc_lo, exec_lo, s3
	s_cbranch_vccnz .LBB11_9
; %bb.4:
	s_add_nc_u64 s[34:35], s[24:25], s[40:41]
	v_dual_mov_b32 v1, 0 :: v_dual_mov_b32 v2, 1
	s_add_nc_u64 s[34:35], s[34:35], s[42:43]
	s_mov_b64 s[36:37], s[8:9]
	s_add_nc_u64 s[34:35], s[12:13], s[34:35]
	s_mov_b32 s4, s38
	s_add_nc_u64 s[34:35], s[34:35], 8
	s_branch .LBB11_6
.LBB11_5:                               ;   in Loop: Header=BB11_6 Depth=1
	s_add_co_i32 s4, s4, -1
	s_wait_xcnt 0x0
	s_add_nc_u64 s[34:35], s[34:35], 4
	s_cmp_eq_u32 s4, 0
	s_add_nc_u64 s[36:37], s[36:37], 4
	s_cbranch_scc1 .LBB11_9
.LBB11_6:                               ; =>This Inner Loop Header: Depth=1
	s_clause 0x1
	global_load_b32 v3, v1, s[36:37]
	global_store_b32 v1, v1, s[34:35]
	s_wait_loadcnt 0x0
	s_wait_kmcnt 0x0
	v_cmp_nle_f32_e32 vcc_lo, s30, v3
	v_cmp_nge_f32_e64 s2, s31, v3
	s_or_b32 s2, vcc_lo, s2
	s_delay_alu instid0(SALU_CYCLE_1)
	s_and_b32 vcc_lo, exec_lo, s2
	s_cbranch_vccnz .LBB11_5
; %bb.7:                                ;   in Loop: Header=BB11_6 Depth=1
	v_mov_b32_e32 v4, s44
	s_add_co_i32 s44, s44, 1
	global_store_b32 v1, v2, s[34:35]
	global_store_b32 v4, v3, s[16:17] scale_offset
	s_branch .LBB11_5
.LBB11_8:
                                        ; implicit-def: $sgpr44
	s_branch .LBB11_10
.LBB11_9:
	s_cbranch_execnz .LBB11_42
.LBB11_10:
	s_add_nc_u64 s[34:35], s[28:29], s[24:25]
	s_and_not1_b32 vcc_lo, exec_lo, s3
	s_add_nc_u64 s[36:37], s[34:35], s[24:25]
	s_cbranch_vccnz .LBB11_15
; %bb.11:
	s_add_nc_u64 s[40:41], s[24:25], s[40:41]
	v_dual_mov_b32 v1, 0 :: v_dual_mov_b32 v2, 1
	s_add_nc_u64 s[40:41], s[40:41], s[42:43]
	s_mov_b32 s3, 0
	s_add_nc_u64 s[12:13], s[12:13], s[40:41]
	s_mov_b64 s[40:41], s[8:9]
	s_add_nc_u64 s[12:13], s[12:13], 8
	s_mov_b32 s4, 0
	s_branch .LBB11_13
.LBB11_12:                              ;   in Loop: Header=BB11_13 Depth=1
	s_add_co_i32 s3, s3, 1
	s_wait_xcnt 0x0
	s_add_nc_u64 s[12:13], s[12:13], 4
	s_cmp_eq_u32 s5, s3
	s_add_nc_u64 s[40:41], s[40:41], 4
	s_cbranch_scc1 .LBB11_16
.LBB11_13:                              ; =>This Inner Loop Header: Depth=1
	s_clause 0x1
	global_load_b32 v3, v1, s[40:41]
	global_store_b32 v1, v1, s[12:13]
	s_wait_loadcnt 0x0
	s_wait_kmcnt 0x0
	v_cmp_nle_f32_e32 vcc_lo, s30, v3
	v_cmp_nge_f32_e64 s2, s31, v3
	s_or_b32 s2, vcc_lo, s2
	s_delay_alu instid0(SALU_CYCLE_1)
	s_and_b32 vcc_lo, exec_lo, s2
	s_cbranch_vccnz .LBB11_12
; %bb.14:                               ;   in Loop: Header=BB11_13 Depth=1
	s_add_co_i32 s42, s4, s5
	s_delay_alu instid0(SALU_CYCLE_1)
	v_dual_mov_b32 v4, s4 :: v_dual_mov_b32 v5, s42
	s_add_co_i32 s2, s4, 1
	v_mov_b32_e32 v6, s3
	s_mov_b32 s4, s2
	global_store_b32 v1, v2, s[12:13]
	s_clause 0x1
	global_store_b32 v4, v3, s[36:37] offset:8 scale_offset
	global_store_b32 v5, v3, s[36:37] offset:8 scale_offset
	;; [unrolled: 1-line block ×3, first 2 shown]
	s_branch .LBB11_12
.LBB11_15:
	s_mov_b32 s4, 0
.LBB11_16:
	s_delay_alu instid0(SALU_CYCLE_1)
	s_cmp_lt_i32 s4, 2
	s_mul_u64 s[2:3], s[38:39], 12
	s_cbranch_scc1 .LBB11_23
; %bb.17:
	s_add_co_i32 s12, s47, 2
	v_mov_b32_e32 v1, 0
	s_mul_i32 s12, s22, s12
	s_mov_b32 s40, 1
	s_ashr_i32 s13, s12, 31
	s_delay_alu instid0(SALU_CYCLE_1) | instskip(NEXT) | instid1(SALU_CYCLE_1)
	s_lshl_b64 s[12:13], s[12:13], 2
	s_add_nc_u64 s[12:13], s[2:3], s[12:13]
	s_delay_alu instid0(SALU_CYCLE_1)
	s_add_nc_u64 s[38:39], s[14:15], s[12:13]
	s_add_nc_u64 s[12:13], s[36:37], s[24:25]
	;; [unrolled: 1-line block ×3, first 2 shown]
	s_branch .LBB11_19
.LBB11_18:                              ;   in Loop: Header=BB11_19 Depth=1
	s_add_co_i32 s40, s40, 1
	s_add_nc_u64 s[38:39], s[38:39], 4
	s_cmp_lg_u32 s40, s4
	s_cbranch_scc0 .LBB11_23
.LBB11_19:                              ; =>This Loop Header: Depth=1
                                        ;     Child Loop BB11_20 Depth 2
	s_wait_kmcnt 0x0
	s_add_co_i32 s30, s40, -1
	s_wait_xcnt 0x0
	v_dual_mov_b32 v2, s40 :: v_dual_mov_b32 v3, s30
	s_ashr_i32 s41, s40, 31
	s_mov_b64 s[44:45], s[38:39]
	s_lshl_b64 s[42:43], s[40:41], 2
	global_load_b32 v2, v2, s[12:13] offset:4 scale_offset
	s_add_nc_u64 s[42:43], s[12:13], s[42:43]
	s_mov_b32 s41, s40
	s_wait_loadcnt 0x0
	v_mov_b32_e32 v4, v2
.LBB11_20:                              ;   Parent Loop BB11_19 Depth=1
                                        ; =>  This Inner Loop Header: Depth=2
	global_load_b32 v5, v1, s[44:45]
	s_wait_xcnt 0x0
	s_add_nc_u64 s[44:45], s[44:45], 4
	s_wait_loadcnt 0x0
	v_cmp_lt_f32_e32 vcc_lo, v5, v4
	v_cndmask_b32_e32 v4, v4, v5, vcc_lo
	v_cndmask_b32_e64 v3, v3, s41, vcc_lo
	s_add_co_i32 s41, s41, 1
	s_delay_alu instid0(SALU_CYCLE_1)
	s_cmp_eq_u32 s4, s41
	s_cbranch_scc0 .LBB11_20
; %bb.21:                               ;   in Loop: Header=BB11_19 Depth=1
	s_delay_alu instid0(VALU_DEP_1)
	v_cmp_ne_u32_e32 vcc_lo, s30, v3
	s_cbranch_vccz .LBB11_18
; %bb.22:                               ;   in Loop: Header=BB11_19 Depth=1
	s_clause 0x1
	global_store_b32 v3, v2, s[12:13] offset:8 scale_offset
	global_store_b32 v1, v4, s[42:43] offset:4
	s_branch .LBB11_18
.LBB11_23:
	s_cmp_lt_i32 s4, 1
	s_cbranch_scc1 .LBB11_41
; %bb.24:
	s_wait_kmcnt 0x0
	s_add_co_i32 s30, s4, -1
	s_cmp_gt_i32 s5, 1
	v_mov_b32_e32 v1, 0
	s_cselect_b32 s42, -1, 0
	s_add_co_i32 s47, s47, 2
	s_mov_b32 s13, 0
	s_mul_i32 s38, s22, s47
	s_add_co_i32 s43, s5, -1
	s_ashr_i32 s39, s38, 31
	s_mov_b32 s12, s13
	s_lshl_b64 s[38:39], s[38:39], 2
	s_mov_b32 s44, s13
	s_add_nc_u64 s[2:3], s[2:3], s[38:39]
	s_add_nc_u64 s[38:39], s[14:15], s[38:39]
	;; [unrolled: 1-line block ×4, first 2 shown]
	s_branch .LBB11_27
.LBB11_25:                              ;   in Loop: Header=BB11_27 Depth=1
	s_mov_b32 s44, s2
.LBB11_26:                              ;   in Loop: Header=BB11_27 Depth=1
	s_add_co_i32 s12, s12, 1
	s_delay_alu instid0(SALU_CYCLE_1)
	s_cmp_eq_u32 s12, s4
	s_cbranch_scc1 .LBB11_42
.LBB11_27:                              ; =>This Loop Header: Depth=1
                                        ;     Child Loop BB11_29 Depth 2
                                        ;     Child Loop BB11_36 Depth 2
	s_wait_xcnt 0x0
	v_mov_b32_e32 v2, s12
	s_mov_b64 s[40:41], s[14:15]
	s_mov_b32 s47, s13
	global_load_b32 v2, v2, s[36:37] offset:8 scale_offset
	s_branch .LBB11_29
.LBB11_28:                              ;   in Loop: Header=BB11_29 Depth=2
	s_add_co_i32 s47, s45, 1
	s_wait_xcnt 0x0
	s_add_nc_u64 s[40:41], s[2:3], 4
	s_cmp_eq_u32 s4, s47
	s_mov_b32 s48, 0
	s_cselect_b32 s49, -1, 0
	s_delay_alu instid0(SALU_CYCLE_1)
	s_and_not1_b32 vcc_lo, exec_lo, s49
	s_cbranch_vccz .LBB11_31
.LBB11_29:                              ;   Parent Loop BB11_27 Depth=1
                                        ; =>  This Inner Loop Header: Depth=2
	global_load_b32 v3, v1, s[40:41] offset:8
	s_mov_b64 s[2:3], s[40:41]
	s_mov_b32 s45, s47
	s_wait_loadcnt 0x0
	v_cmp_neq_f32_e32 vcc_lo, v2, v3
	s_cbranch_vccnz .LBB11_28
; %bb.30:                               ;   in Loop: Header=BB11_27 Depth=1
	s_mov_b32 s48, -1
                                        ; implicit-def: $sgpr47
                                        ; implicit-def: $sgpr40_sgpr41
.LBB11_31:                              ;   in Loop: Header=BB11_27 Depth=1
	s_delay_alu instid0(SALU_CYCLE_1)
	s_and_b32 vcc_lo, exec_lo, s48
	s_cbranch_vccz .LBB11_26
; %bb.32:                               ;   in Loop: Header=BB11_27 Depth=1
	v_mov_b32_e32 v5, s31
	s_cmp_eq_u32 s45, s30
	s_cbranch_scc1 .LBB11_34
; %bb.33:                               ;   in Loop: Header=BB11_27 Depth=1
	global_load_b32 v5, v1, s[2:3] offset:12
.LBB11_34:                              ;   in Loop: Header=BB11_27 Depth=1
	s_clause 0x1
	global_load_b32 v6, v1, s[34:35] offset:8
	global_load_b32 v4, v1, s[28:29] offset:8
	s_wait_loadcnt 0x2
	v_sub_f32_e32 v3, v5, v3
	s_and_not1_b32 vcc_lo, exec_lo, s42
	s_delay_alu instid0(VALU_DEP_1) | instskip(SKIP_1) | instid1(VALU_DEP_1)
	v_fma_f32 v5, 0.5, v3, v2
	s_wait_loadcnt 0x1
	v_sub_f32_e32 v7, v6, v5
	s_wait_loadcnt 0x0
	s_wait_xcnt 0x2
	s_delay_alu instid0(VALU_DEP_1) | instskip(NEXT) | instid1(VALU_DEP_1)
	v_cmp_le_f32_e64 s2, v7, v4
	v_cndmask_b32_e64 v3, 0, 1, s2
	s_cbranch_vccnz .LBB11_37
; %bb.35:                               ;   in Loop: Header=BB11_27 Depth=1
	v_xor_b32_e32 v6, 0x80000000, v4
	s_mov_b64 s[40:41], s[38:39]
	s_mov_b32 s3, s43
	s_delay_alu instid0(VALU_DEP_1)
	v_cmp_gt_f32_e32 vcc_lo, v7, v6
	s_and_b32 vcc_lo, s2, vcc_lo
	v_cndmask_b32_e32 v7, v7, v6, vcc_lo
.LBB11_36:                              ;   Parent Loop BB11_27 Depth=1
                                        ; =>  This Inner Loop Header: Depth=2
	s_wait_xcnt 0x0
	s_add_nc_u64 s[48:49], s[40:41], s[24:25]
	s_clause 0x1
	global_load_b32 v8, v1, s[40:41]
	global_load_b32 v9, v1, s[48:49]
	s_add_co_i32 s3, s3, -1
	s_wait_xcnt 0x1
	s_add_nc_u64 s[40:41], s[40:41], 4
	s_wait_loadcnt 0x1
	v_div_scale_f32 v10, null, v7, v7, v8
	v_div_scale_f32 v13, vcc_lo, v8, v7, v8
	s_wait_loadcnt 0x0
	v_sub_f32_e32 v9, v9, v5
	s_delay_alu instid0(VALU_DEP_3)
	v_rcp_f32_e32 v11, v10
	v_nop
	v_xor_b32_e32 v10, 0x80000000, v10
	s_delay_alu instid0(TRANS32_DEP_1) | instid1(VALU_DEP_1)
	v_fma_f32 v12, v10, v11, 1.0
	s_delay_alu instid0(VALU_DEP_1) | instskip(NEXT) | instid1(VALU_DEP_1)
	v_fmac_f32_e32 v11, v12, v11
	v_mul_f32_e32 v12, v13, v11
	s_delay_alu instid0(VALU_DEP_1) | instskip(NEXT) | instid1(VALU_DEP_1)
	v_fma_f32 v14, v10, v12, v13
	v_fmac_f32_e32 v12, v14, v11
	s_delay_alu instid0(VALU_DEP_1) | instskip(NEXT) | instid1(VALU_DEP_1)
	v_fmac_f32_e32 v13, v10, v12
	v_div_fmas_f32 v10, v13, v11, v12
	s_delay_alu instid0(VALU_DEP_1) | instskip(NEXT) | instid1(VALU_DEP_1)
	v_div_fixup_f32 v7, v10, v7, v8
	v_sub_f32_e32 v7, v9, v7
	s_delay_alu instid0(VALU_DEP_1)
	v_cmp_le_f32_e32 vcc_lo, v7, v4
	v_cmp_gt_f32_e64 s2, v7, v6
	v_add_co_ci_u32_e64 v3, null, 0, v3, vcc_lo
	s_and_b32 vcc_lo, vcc_lo, s2
	s_cmp_lg_u32 s3, 0
	v_cndmask_b32_e32 v7, v7, v6, vcc_lo
	s_cbranch_scc1 .LBB11_36
.LBB11_37:                              ;   in Loop: Header=BB11_27 Depth=1
	s_delay_alu instid0(VALU_DEP_1) | instskip(SKIP_3) | instid1(SALU_CYCLE_1)
	v_cmp_gt_i32_e32 vcc_lo, s6, v3
	v_cmp_lt_i32_e64 s2, s7, v3
	s_mov_b32 s3, -1
	s_or_b32 s2, vcc_lo, s2
	s_and_b32 vcc_lo, exec_lo, s2
                                        ; implicit-def: $sgpr2
	s_cbranch_vccnz .LBB11_39
; %bb.38:                               ;   in Loop: Header=BB11_27 Depth=1
	v_mov_b32_e32 v3, s44
	s_add_co_i32 s2, s44, 1
	s_mov_b32 s3, 0
	global_store_b32 v3, v2, s[16:17] scale_offset
.LBB11_39:                              ;   in Loop: Header=BB11_27 Depth=1
	s_and_not1_b32 vcc_lo, exec_lo, s3
	s_cbranch_vccnz .LBB11_25
; %bb.40:                               ;   in Loop: Header=BB11_27 Depth=1
	s_lshl_b64 s[2:3], s[12:13], 2
	s_delay_alu instid0(SALU_CYCLE_1)
	s_add_nc_u64 s[2:3], s[26:27], s[2:3]
	global_load_b32 v2, v1, s[2:3] offset:8
	s_wait_xcnt 0x0
	s_mov_b32 s2, s44
	s_wait_loadcnt 0x0
	global_store_b32 v2, v1, s[20:21] offset:8 scale_offset
	s_branch .LBB11_25
.LBB11_41:
	s_mov_b32 s44, 0
.LBB11_42:
	s_wait_xcnt 0x0
	v_dual_mov_b32 v1, 0 :: v_dual_mov_b32 v2, s44
	global_store_b32 v1, v2, s[18:19]
.LBB11_43:
	s_wait_xcnt 0x0
	s_or_b32 exec_lo, exec_lo, s46
	s_cmp_lt_i32 s5, 1
	s_wait_storecnt 0x0
	s_barrier_signal -1
	s_barrier_wait -1
	s_cbranch_scc1 .LBB11_51
; %bb.44:
	s_clause 0x1
	s_load_b64 s[2:3], s[0:1], 0x48
	s_load_b32 s4, s[0:1], 0x40
	v_cmp_le_i32_e32 vcc_lo, s5, v0
	v_mov_b32_e32 v2, v0
	s_wait_xcnt 0x0
	s_mov_b32 s1, 0
	s_lshl_b32 s0, s33, 2
	s_mov_b32 s12, s1
	s_xor_b32 s13, vcc_lo, -1
	s_wait_kmcnt 0x0
	s_mul_u64 s[2:3], s[2:3], s[22:23]
	s_delay_alu instid0(SALU_CYCLE_1) | instskip(NEXT) | instid1(SALU_CYCLE_1)
	s_lshl_b64 s[2:3], s[2:3], 2
	s_add_nc_u64 s[2:3], s[10:11], s[2:3]
	s_mov_b32 s10, s1
	s_branch .LBB11_47
.LBB11_45:                              ;   in Loop: Header=BB11_47 Depth=1
	s_or_b32 exec_lo, exec_lo, s11
	s_add_co_i32 s10, s10, 1
.LBB11_46:                              ;   in Loop: Header=BB11_47 Depth=1
	v_add_nc_u32_e32 v2, s4, v2
	s_add_co_i32 s12, s12, 1
	s_wait_storecnt 0x0
	s_cmp_lg_u32 s12, s5
	s_barrier_signal -1
	s_barrier_wait -1
	s_cbranch_scc0 .LBB11_51
.LBB11_47:                              ; =>This Loop Header: Depth=1
                                        ;     Child Loop BB11_50 Depth 2
	v_mov_b32_e32 v1, s12
	global_load_b32 v1, v1, s[20:21] offset:8 scale_offset
	s_wait_loadcnt 0x0
	v_cmp_ne_u32_e32 vcc_lo, 1, v1
	s_cbranch_vccnz .LBB11_46
; %bb.48:                               ;   in Loop: Header=BB11_47 Depth=1
	s_cmp_lg_u32 s12, s10
	s_cselect_b32 s6, -1, 0
	s_delay_alu instid0(SALU_CYCLE_1) | instskip(NEXT) | instid1(SALU_CYCLE_1)
	s_and_b32 s6, s6, s13
	s_and_saveexec_b32 s11, s6
	s_cbranch_execz .LBB11_45
; %bb.49:                               ;   in Loop: Header=BB11_47 Depth=1
	v_mad_u32 v6, s10, s4, v0
	v_dual_ashrrev_i32 v3, 31, v2 :: v_dual_mov_b32 v1, v0
	s_mov_b32 s14, 0
	s_mov_b64 s[6:7], s[2:3]
	s_delay_alu instid0(VALU_DEP_1) | instskip(NEXT) | instid1(VALU_DEP_3)
	v_lshlrev_b64_e32 v[4:5], 2, v[2:3]
	v_ashrrev_i32_e32 v7, 31, v6
	s_delay_alu instid0(VALU_DEP_1)
	v_lshlrev_b64_e32 v[6:7], 2, v[6:7]
.LBB11_50:                              ;   Parent Loop BB11_47 Depth=1
                                        ; =>  This Inner Loop Header: Depth=2
	s_delay_alu instid0(VALU_DEP_3) | instskip(SKIP_1) | instid1(VALU_DEP_1)
	v_add_nc_u64_e32 v[8:9], s[6:7], v[4:5]
	v_add_nc_u32_e32 v1, s33, v1
	v_cmp_le_i32_e32 vcc_lo, s5, v1
	global_load_b32 v3, v[8:9], off
	s_wait_xcnt 0x0
	v_add_nc_u64_e32 v[8:9], s[6:7], v[6:7]
	s_add_nc_u64 s[6:7], s[6:7], s[0:1]
	s_or_b32 s14, vcc_lo, s14
	s_wait_loadcnt 0x0
	global_store_b32 v[8:9], v3, off
	s_wait_xcnt 0x0
	s_and_not1_b32 exec_lo, exec_lo, s14
	s_cbranch_execnz .LBB11_50
	s_branch .LBB11_45
.LBB11_51:
	s_mov_b32 s2, 0
.LBB11_52:
	s_delay_alu instid0(SALU_CYCLE_1)
	s_and_b32 vcc_lo, exec_lo, s2
	s_cbranch_vccz .LBB11_56
; %bb.53:
	v_dual_mov_b32 v3, 0 :: v_dual_mov_b32 v1, s5
	s_mov_b32 s0, exec_lo
	global_store_b32 v3, v1, s[18:19]
	s_wait_xcnt 0x0
	v_cmpx_gt_i32_e64 s5, v0
	s_cbranch_execz .LBB11_56
; %bb.54:
	v_lshlrev_b32_e32 v2, 2, v0
	s_mov_b32 s1, 0
	s_lshl_b32 s0, s33, 2
	s_mov_b32 s2, s1
.LBB11_55:                              ; =>This Inner Loop Header: Depth=1
	s_delay_alu instid0(VALU_DEP_1) | instskip(SKIP_1) | instid1(VALU_DEP_1)
	v_add_nc_u64_e32 v[4:5], s[8:9], v[2:3]
	v_add_nc_u32_e32 v0, s33, v0
	v_cmp_le_i32_e32 vcc_lo, s5, v0
	global_load_b32 v1, v[4:5], off
	s_wait_xcnt 0x0
	v_add_nc_u64_e32 v[4:5], s[16:17], v[2:3]
	v_add_nc_u64_e32 v[2:3], s[0:1], v[2:3]
	s_or_b32 s2, vcc_lo, s2
	s_wait_loadcnt 0x0
	global_store_b32 v[4:5], v1, off
	s_wait_xcnt 0x0
	s_and_not1_b32 exec_lo, exec_lo, s2
	s_cbranch_execnz .LBB11_55
.LBB11_56:
	s_endpgm
	.section	.rodata,"a",@progbits
	.p2align	6, 0x0
	.amdhsa_kernel _ZN9rocsolver6v33100L23stedcx_synthesis_kernelIfEEv15rocblas_erange_iiiPT_lPiS4_lS4_iliS5_S4_S3_
		.amdhsa_group_segment_fixed_size 0
		.amdhsa_private_segment_fixed_size 0
		.amdhsa_kernarg_size 368
		.amdhsa_user_sgpr_count 2
		.amdhsa_user_sgpr_dispatch_ptr 0
		.amdhsa_user_sgpr_queue_ptr 0
		.amdhsa_user_sgpr_kernarg_segment_ptr 1
		.amdhsa_user_sgpr_dispatch_id 0
		.amdhsa_user_sgpr_kernarg_preload_length 0
		.amdhsa_user_sgpr_kernarg_preload_offset 0
		.amdhsa_user_sgpr_private_segment_size 0
		.amdhsa_wavefront_size32 1
		.amdhsa_uses_dynamic_stack 0
		.amdhsa_enable_private_segment 0
		.amdhsa_system_sgpr_workgroup_id_x 1
		.amdhsa_system_sgpr_workgroup_id_y 1
		.amdhsa_system_sgpr_workgroup_id_z 0
		.amdhsa_system_sgpr_workgroup_info 0
		.amdhsa_system_vgpr_workitem_id 0
		.amdhsa_next_free_vgpr 15
		.amdhsa_next_free_sgpr 50
		.amdhsa_named_barrier_count 0
		.amdhsa_reserve_vcc 1
		.amdhsa_float_round_mode_32 0
		.amdhsa_float_round_mode_16_64 0
		.amdhsa_float_denorm_mode_32 3
		.amdhsa_float_denorm_mode_16_64 3
		.amdhsa_fp16_overflow 0
		.amdhsa_memory_ordered 1
		.amdhsa_forward_progress 1
		.amdhsa_inst_pref_size 17
		.amdhsa_round_robin_scheduling 0
		.amdhsa_exception_fp_ieee_invalid_op 0
		.amdhsa_exception_fp_denorm_src 0
		.amdhsa_exception_fp_ieee_div_zero 0
		.amdhsa_exception_fp_ieee_overflow 0
		.amdhsa_exception_fp_ieee_underflow 0
		.amdhsa_exception_fp_ieee_inexact 0
		.amdhsa_exception_int_div_zero 0
	.end_amdhsa_kernel
	.section	.text._ZN9rocsolver6v33100L23stedcx_synthesis_kernelIfEEv15rocblas_erange_iiiPT_lPiS4_lS4_iliS5_S4_S3_,"axG",@progbits,_ZN9rocsolver6v33100L23stedcx_synthesis_kernelIfEEv15rocblas_erange_iiiPT_lPiS4_lS4_iliS5_S4_S3_,comdat
.Lfunc_end11:
	.size	_ZN9rocsolver6v33100L23stedcx_synthesis_kernelIfEEv15rocblas_erange_iiiPT_lPiS4_lS4_iliS5_S4_S3_, .Lfunc_end11-_ZN9rocsolver6v33100L23stedcx_synthesis_kernelIfEEv15rocblas_erange_iiiPT_lPiS4_lS4_iliS5_S4_S3_
                                        ; -- End function
	.set _ZN9rocsolver6v33100L23stedcx_synthesis_kernelIfEEv15rocblas_erange_iiiPT_lPiS4_lS4_iliS5_S4_S3_.num_vgpr, 15
	.set _ZN9rocsolver6v33100L23stedcx_synthesis_kernelIfEEv15rocblas_erange_iiiPT_lPiS4_lS4_iliS5_S4_S3_.num_agpr, 0
	.set _ZN9rocsolver6v33100L23stedcx_synthesis_kernelIfEEv15rocblas_erange_iiiPT_lPiS4_lS4_iliS5_S4_S3_.numbered_sgpr, 50
	.set _ZN9rocsolver6v33100L23stedcx_synthesis_kernelIfEEv15rocblas_erange_iiiPT_lPiS4_lS4_iliS5_S4_S3_.num_named_barrier, 0
	.set _ZN9rocsolver6v33100L23stedcx_synthesis_kernelIfEEv15rocblas_erange_iiiPT_lPiS4_lS4_iliS5_S4_S3_.private_seg_size, 0
	.set _ZN9rocsolver6v33100L23stedcx_synthesis_kernelIfEEv15rocblas_erange_iiiPT_lPiS4_lS4_iliS5_S4_S3_.uses_vcc, 1
	.set _ZN9rocsolver6v33100L23stedcx_synthesis_kernelIfEEv15rocblas_erange_iiiPT_lPiS4_lS4_iliS5_S4_S3_.uses_flat_scratch, 0
	.set _ZN9rocsolver6v33100L23stedcx_synthesis_kernelIfEEv15rocblas_erange_iiiPT_lPiS4_lS4_iliS5_S4_S3_.has_dyn_sized_stack, 0
	.set _ZN9rocsolver6v33100L23stedcx_synthesis_kernelIfEEv15rocblas_erange_iiiPT_lPiS4_lS4_iliS5_S4_S3_.has_recursion, 0
	.set _ZN9rocsolver6v33100L23stedcx_synthesis_kernelIfEEv15rocblas_erange_iiiPT_lPiS4_lS4_iliS5_S4_S3_.has_indirect_call, 0
	.section	.AMDGPU.csdata,"",@progbits
; Kernel info:
; codeLenInByte = 2132
; TotalNumSgprs: 52
; NumVgprs: 15
; ScratchSize: 0
; MemoryBound: 0
; FloatMode: 240
; IeeeMode: 1
; LDSByteSize: 0 bytes/workgroup (compile time only)
; SGPRBlocks: 0
; VGPRBlocks: 0
; NumSGPRsForWavesPerEU: 52
; NumVGPRsForWavesPerEU: 15
; NamedBarCnt: 0
; Occupancy: 16
; WaveLimiterHint : 1
; COMPUTE_PGM_RSRC2:SCRATCH_EN: 0
; COMPUTE_PGM_RSRC2:USER_SGPR: 2
; COMPUTE_PGM_RSRC2:TRAP_HANDLER: 0
; COMPUTE_PGM_RSRC2:TGID_X_EN: 1
; COMPUTE_PGM_RSRC2:TGID_Y_EN: 1
; COMPUTE_PGM_RSRC2:TGID_Z_EN: 0
; COMPUTE_PGM_RSRC2:TIDIG_COMP_CNT: 0
	.section	.text._ZN9rocsolver6v33100L8copy_matIfPfNS0_7no_maskEEEvNS0_17copymat_directionEiiT0_iilPT_T1_13rocblas_fill_17rocblas_diagonal_,"axG",@progbits,_ZN9rocsolver6v33100L8copy_matIfPfNS0_7no_maskEEEvNS0_17copymat_directionEiiT0_iilPT_T1_13rocblas_fill_17rocblas_diagonal_,comdat
	.globl	_ZN9rocsolver6v33100L8copy_matIfPfNS0_7no_maskEEEvNS0_17copymat_directionEiiT0_iilPT_T1_13rocblas_fill_17rocblas_diagonal_ ; -- Begin function _ZN9rocsolver6v33100L8copy_matIfPfNS0_7no_maskEEEvNS0_17copymat_directionEiiT0_iilPT_T1_13rocblas_fill_17rocblas_diagonal_
	.p2align	8
	.type	_ZN9rocsolver6v33100L8copy_matIfPfNS0_7no_maskEEEvNS0_17copymat_directionEiiT0_iilPT_T1_13rocblas_fill_17rocblas_diagonal_,@function
_ZN9rocsolver6v33100L8copy_matIfPfNS0_7no_maskEEEvNS0_17copymat_directionEiiT0_iilPT_T1_13rocblas_fill_17rocblas_diagonal_: ; @_ZN9rocsolver6v33100L8copy_matIfPfNS0_7no_maskEEEvNS0_17copymat_directionEiiT0_iilPT_T1_13rocblas_fill_17rocblas_diagonal_
; %bb.0:
	s_clause 0x1
	s_load_b32 s2, s[0:1], 0x4c
	s_load_b96 s[12:14], s[0:1], 0x0
	s_bfe_u32 s5, ttmp6, 0x4000c
	s_bfe_u32 s7, ttmp6, 0x40010
	s_and_b32 s6, ttmp7, 0xffff
	s_add_co_i32 s5, s5, 1
	s_add_co_i32 s7, s7, 1
	s_and_b32 s4, ttmp6, 15
	s_bfe_u32 s8, ttmp6, 0x40004
	s_mul_i32 s5, ttmp9, s5
	s_mul_i32 s7, s6, s7
	s_getreg_b32 s3, hwreg(HW_REG_IB_STS2, 6, 4)
	v_bfe_u32 v1, v0, 10, 10
	v_and_b32_e32 v0, 0x3ff, v0
	s_add_co_i32 s4, s4, s5
	s_add_co_i32 s8, s8, s7
	s_wait_kmcnt 0x0
	s_lshr_b32 s5, s2, 16
	s_and_b32 s2, s2, 0xffff
	s_cmp_eq_u32 s3, 0
	s_cselect_b32 s4, ttmp9, s4
	s_cselect_b32 s6, s6, s8
	v_mad_u32 v0, s4, s2, v0
	v_mad_u32 v1, s6, s5, v1
	s_delay_alu instid0(VALU_DEP_2) | instskip(NEXT) | instid1(VALU_DEP_2)
	v_cmp_gt_u32_e32 vcc_lo, s13, v0
	v_cmp_gt_u32_e64 s2, s14, v1
	s_and_b32 s2, s2, vcc_lo
	s_delay_alu instid0(SALU_CYCLE_1)
	s_and_saveexec_b32 s4, s2
	s_cbranch_execz .LBB12_14
; %bb.1:
	s_load_b64 s[4:5], s[0:1], 0x34
	s_wait_kmcnt 0x0
	s_cmp_lt_i32 s4, 0x7a
	s_cbranch_scc1 .LBB12_4
; %bb.2:
	s_cmp_gt_i32 s4, 0x7a
	s_cbranch_scc0 .LBB12_5
; %bb.3:
	s_cmp_lg_u32 s4, 0x7b
	s_mov_b32 s6, -1
	s_cselect_b32 s7, -1, 0
	s_cbranch_execz .LBB12_6
	s_branch .LBB12_7
.LBB12_4:
	s_mov_b32 s7, 0
	s_mov_b32 s6, 0
	s_cbranch_execnz .LBB12_8
	s_branch .LBB12_10
.LBB12_5:
	s_mov_b32 s6, 0
	s_mov_b32 s7, 0
.LBB12_6:
	v_cmp_gt_u32_e32 vcc_lo, v0, v1
	v_cmp_le_u32_e64 s2, v0, v1
	s_and_not1_b32 s6, s6, exec_lo
	s_and_not1_b32 s7, s7, exec_lo
	s_and_b32 s8, vcc_lo, exec_lo
	s_and_b32 s2, s2, exec_lo
	s_or_b32 s6, s6, s8
	s_or_b32 s7, s7, s2
.LBB12_7:
	s_branch .LBB12_10
.LBB12_8:
	s_cmp_eq_u32 s4, 0x79
	s_mov_b32 s7, -1
	s_cbranch_scc0 .LBB12_10
; %bb.9:
	v_cmp_gt_u32_e32 vcc_lo, v1, v0
	v_cmp_le_u32_e64 s2, v1, v0
	s_and_not1_b32 s4, s6, exec_lo
	s_and_b32 s6, vcc_lo, exec_lo
	s_or_not1_b32 s7, s2, exec_lo
	s_or_b32 s6, s4, s6
.LBB12_10:
	s_and_saveexec_b32 s2, s7
; %bb.11:
	v_cmp_eq_u32_e32 vcc_lo, v0, v1
	s_cmp_eq_u32 s5, 0x83
	s_cselect_b32 s4, -1, 0
	s_and_not1_b32 s5, s6, exec_lo
	s_and_b32 s4, s4, vcc_lo
	s_delay_alu instid0(SALU_CYCLE_1) | instskip(NEXT) | instid1(SALU_CYCLE_1)
	s_and_b32 s4, s4, exec_lo
	s_or_b32 s6, s5, s4
; %bb.12:
	s_or_b32 exec_lo, exec_lo, s2
	s_delay_alu instid0(SALU_CYCLE_1)
	s_and_b32 exec_lo, exec_lo, s6
	s_cbranch_execz .LBB12_14
; %bb.13:
	s_load_b256 s[4:11], s[0:1], 0x10
	s_bfe_u32 s2, ttmp6, 0x40014
	s_lshr_b32 s16, ttmp7, 16
	s_add_co_i32 s2, s2, 1
	s_bfe_u32 s17, ttmp6, 0x40008
	s_mul_i32 s2, s16, s2
	s_wait_xcnt 0x0
	s_ashr_i32 s1, s13, 31
	s_ashr_i32 s15, s14, 31
	s_add_co_i32 s2, s17, s2
	s_mov_b32 s0, s13
	s_wait_kmcnt 0x0
	s_ashr_i32 s17, s6, 31
	s_cmp_eq_u32 s3, 0
	s_mov_b32 s3, 0
	s_cselect_b32 s2, s16, s2
	s_mov_b32 s16, s6
	s_mul_u64 s[0:1], s[0:1], s[2:3]
	s_mul_u64 s[8:9], s[8:9], s[2:3]
	;; [unrolled: 1-line block ×3, first 2 shown]
	s_lshl_b64 s[2:3], s[8:9], 2
	s_lshl_b64 s[8:9], s[16:17], 2
	;; [unrolled: 1-line block ×3, first 2 shown]
	s_cmp_eq_u32 s12, 0
	s_add_nc_u64 s[2:3], s[4:5], s[2:3]
	s_cselect_b32 s6, s7, s13
	s_add_nc_u64 s[2:3], s[2:3], s[8:9]
	v_mad_u32 v2, v1, s6, v0
	s_add_nc_u64 s[0:1], s[10:11], s[0:1]
	s_delay_alu instid0(SALU_CYCLE_1)
	s_cselect_b32 s5, s3, s1
	s_cselect_b32 s4, s2, s0
	s_cselect_b32 s1, s1, s3
	s_cselect_b32 s0, s0, s2
	global_load_b32 v2, v2, s[4:5] scale_offset
	s_wait_xcnt 0x0
	s_cselect_b32 s4, s13, s7
	s_delay_alu instid0(SALU_CYCLE_1)
	v_mad_u32 v0, v1, s4, v0
	s_wait_loadcnt 0x0
	global_store_b32 v0, v2, s[0:1] scale_offset
.LBB12_14:
	s_endpgm
	.section	.rodata,"a",@progbits
	.p2align	6, 0x0
	.amdhsa_kernel _ZN9rocsolver6v33100L8copy_matIfPfNS0_7no_maskEEEvNS0_17copymat_directionEiiT0_iilPT_T1_13rocblas_fill_17rocblas_diagonal_
		.amdhsa_group_segment_fixed_size 0
		.amdhsa_private_segment_fixed_size 0
		.amdhsa_kernarg_size 320
		.amdhsa_user_sgpr_count 2
		.amdhsa_user_sgpr_dispatch_ptr 0
		.amdhsa_user_sgpr_queue_ptr 0
		.amdhsa_user_sgpr_kernarg_segment_ptr 1
		.amdhsa_user_sgpr_dispatch_id 0
		.amdhsa_user_sgpr_kernarg_preload_length 0
		.amdhsa_user_sgpr_kernarg_preload_offset 0
		.amdhsa_user_sgpr_private_segment_size 0
		.amdhsa_wavefront_size32 1
		.amdhsa_uses_dynamic_stack 0
		.amdhsa_enable_private_segment 0
		.amdhsa_system_sgpr_workgroup_id_x 1
		.amdhsa_system_sgpr_workgroup_id_y 1
		.amdhsa_system_sgpr_workgroup_id_z 1
		.amdhsa_system_sgpr_workgroup_info 0
		.amdhsa_system_vgpr_workitem_id 1
		.amdhsa_next_free_vgpr 3
		.amdhsa_next_free_sgpr 18
		.amdhsa_named_barrier_count 0
		.amdhsa_reserve_vcc 1
		.amdhsa_float_round_mode_32 0
		.amdhsa_float_round_mode_16_64 0
		.amdhsa_float_denorm_mode_32 3
		.amdhsa_float_denorm_mode_16_64 3
		.amdhsa_fp16_overflow 0
		.amdhsa_memory_ordered 1
		.amdhsa_forward_progress 1
		.amdhsa_inst_pref_size 5
		.amdhsa_round_robin_scheduling 0
		.amdhsa_exception_fp_ieee_invalid_op 0
		.amdhsa_exception_fp_denorm_src 0
		.amdhsa_exception_fp_ieee_div_zero 0
		.amdhsa_exception_fp_ieee_overflow 0
		.amdhsa_exception_fp_ieee_underflow 0
		.amdhsa_exception_fp_ieee_inexact 0
		.amdhsa_exception_int_div_zero 0
	.end_amdhsa_kernel
	.section	.text._ZN9rocsolver6v33100L8copy_matIfPfNS0_7no_maskEEEvNS0_17copymat_directionEiiT0_iilPT_T1_13rocblas_fill_17rocblas_diagonal_,"axG",@progbits,_ZN9rocsolver6v33100L8copy_matIfPfNS0_7no_maskEEEvNS0_17copymat_directionEiiT0_iilPT_T1_13rocblas_fill_17rocblas_diagonal_,comdat
.Lfunc_end12:
	.size	_ZN9rocsolver6v33100L8copy_matIfPfNS0_7no_maskEEEvNS0_17copymat_directionEiiT0_iilPT_T1_13rocblas_fill_17rocblas_diagonal_, .Lfunc_end12-_ZN9rocsolver6v33100L8copy_matIfPfNS0_7no_maskEEEvNS0_17copymat_directionEiiT0_iilPT_T1_13rocblas_fill_17rocblas_diagonal_
                                        ; -- End function
	.set _ZN9rocsolver6v33100L8copy_matIfPfNS0_7no_maskEEEvNS0_17copymat_directionEiiT0_iilPT_T1_13rocblas_fill_17rocblas_diagonal_.num_vgpr, 3
	.set _ZN9rocsolver6v33100L8copy_matIfPfNS0_7no_maskEEEvNS0_17copymat_directionEiiT0_iilPT_T1_13rocblas_fill_17rocblas_diagonal_.num_agpr, 0
	.set _ZN9rocsolver6v33100L8copy_matIfPfNS0_7no_maskEEEvNS0_17copymat_directionEiiT0_iilPT_T1_13rocblas_fill_17rocblas_diagonal_.numbered_sgpr, 18
	.set _ZN9rocsolver6v33100L8copy_matIfPfNS0_7no_maskEEEvNS0_17copymat_directionEiiT0_iilPT_T1_13rocblas_fill_17rocblas_diagonal_.num_named_barrier, 0
	.set _ZN9rocsolver6v33100L8copy_matIfPfNS0_7no_maskEEEvNS0_17copymat_directionEiiT0_iilPT_T1_13rocblas_fill_17rocblas_diagonal_.private_seg_size, 0
	.set _ZN9rocsolver6v33100L8copy_matIfPfNS0_7no_maskEEEvNS0_17copymat_directionEiiT0_iilPT_T1_13rocblas_fill_17rocblas_diagonal_.uses_vcc, 1
	.set _ZN9rocsolver6v33100L8copy_matIfPfNS0_7no_maskEEEvNS0_17copymat_directionEiiT0_iilPT_T1_13rocblas_fill_17rocblas_diagonal_.uses_flat_scratch, 0
	.set _ZN9rocsolver6v33100L8copy_matIfPfNS0_7no_maskEEEvNS0_17copymat_directionEiiT0_iilPT_T1_13rocblas_fill_17rocblas_diagonal_.has_dyn_sized_stack, 0
	.set _ZN9rocsolver6v33100L8copy_matIfPfNS0_7no_maskEEEvNS0_17copymat_directionEiiT0_iilPT_T1_13rocblas_fill_17rocblas_diagonal_.has_recursion, 0
	.set _ZN9rocsolver6v33100L8copy_matIfPfNS0_7no_maskEEEvNS0_17copymat_directionEiiT0_iilPT_T1_13rocblas_fill_17rocblas_diagonal_.has_indirect_call, 0
	.section	.AMDGPU.csdata,"",@progbits
; Kernel info:
; codeLenInByte = 604
; TotalNumSgprs: 20
; NumVgprs: 3
; ScratchSize: 0
; MemoryBound: 0
; FloatMode: 240
; IeeeMode: 1
; LDSByteSize: 0 bytes/workgroup (compile time only)
; SGPRBlocks: 0
; VGPRBlocks: 0
; NumSGPRsForWavesPerEU: 20
; NumVGPRsForWavesPerEU: 3
; NamedBarCnt: 0
; Occupancy: 16
; WaveLimiterHint : 0
; COMPUTE_PGM_RSRC2:SCRATCH_EN: 0
; COMPUTE_PGM_RSRC2:USER_SGPR: 2
; COMPUTE_PGM_RSRC2:TRAP_HANDLER: 0
; COMPUTE_PGM_RSRC2:TGID_X_EN: 1
; COMPUTE_PGM_RSRC2:TGID_Y_EN: 1
; COMPUTE_PGM_RSRC2:TGID_Z_EN: 1
; COMPUTE_PGM_RSRC2:TIDIG_COMP_CNT: 1
	.text
	.p2align	2                               ; -- Begin function __ockl_fprintf_append_string_n
	.type	__ockl_fprintf_append_string_n,@function
__ockl_fprintf_append_string_n:         ; @__ockl_fprintf_append_string_n
; %bb.0:
	s_wait_loadcnt_dscnt 0x0
	s_wait_kmcnt 0x0
	v_dual_mov_b32 v9, v3 :: v_dual_mov_b32 v8, v2
	v_or_b32_e32 v2, 2, v0
	v_cmp_eq_u32_e64 s0, 0, v6
	v_mbcnt_lo_u32_b32 v30, -1, 0
	s_mov_b32 s7, 0
	v_cndmask_b32_e64 v0, v2, v0, s0
	s_mov_b32 s0, exec_lo
	v_cmpx_ne_u64_e32 0, v[8:9]
	s_xor_b32 s6, exec_lo, s0
	s_cbranch_execz .LBB13_86
; %bb.1:
	s_load_b64 s[2:3], s[8:9], 0x50
	v_mov_b64_e32 v[12:13], 0x100000002
	v_dual_mov_b32 v11, 0 :: v_dual_bitop2_b32 v6, 2, v0 bitop3:0x40
	v_and_b32_e32 v0, -3, v0
	s_mov_b32 s10, 0
	s_branch .LBB13_3
.LBB13_2:                               ;   in Loop: Header=BB13_3 Depth=1
	s_or_b32 exec_lo, exec_lo, s11
	v_sub_nc_u64_e32 v[4:5], v[4:5], v[32:33]
	v_add_nc_u64_e32 v[8:9], v[8:9], v[32:33]
	s_delay_alu instid0(VALU_DEP_2) | instskip(SKIP_1) | instid1(SALU_CYCLE_1)
	v_cmp_eq_u64_e32 vcc_lo, 0, v[4:5]
	s_or_b32 s10, vcc_lo, s10
	s_and_not1_b32 exec_lo, exec_lo, s10
	s_cbranch_execz .LBB13_85
.LBB13_3:                               ; =>This Loop Header: Depth=1
                                        ;     Child Loop BB13_6 Depth 2
                                        ;     Child Loop BB13_14 Depth 2
	;; [unrolled: 1-line block ×11, first 2 shown]
	v_min_u64 v[32:33], v[4:5], 56
	s_delay_alu instid0(VALU_DEP_3)
	v_add_nc_u64_e32 v[16:17], 8, v[8:9]
	s_mov_b32 s0, exec_lo
	v_cmpx_gt_u64_e32 8, v[4:5]
	s_xor_b32 s4, exec_lo, s0
	s_cbranch_execz .LBB13_9
; %bb.4:                                ;   in Loop: Header=BB13_3 Depth=1
	s_wait_loadcnt 0x0
	v_mov_b64_e32 v[2:3], 0
	s_mov_b32 s5, exec_lo
	v_cmpx_ne_u64_e32 0, v[4:5]
	s_cbranch_execz .LBB13_8
; %bb.5:                                ;   in Loop: Header=BB13_3 Depth=1
	v_mov_b64_e32 v[2:3], 0
	v_mov_b64_e32 v[14:15], v[8:9]
	v_lshlrev_b32_e32 v10, 3, v32
	s_mov_b64 s[0:1], 0
	s_mov_b32 s11, 0
.LBB13_6:                               ;   Parent Loop BB13_3 Depth=1
                                        ; =>  This Inner Loop Header: Depth=2
	global_load_u8 v7, v[14:15], off
	v_mov_b32_e32 v17, s7
	s_wait_xcnt 0x0
	v_add_nc_u64_e32 v[14:15], 1, v[14:15]
	s_wait_loadcnt 0x0
	v_and_b32_e32 v16, 0xffff, v7
	s_delay_alu instid0(VALU_DEP_1) | instskip(SKIP_1) | instid1(SALU_CYCLE_1)
	v_lshlrev_b64_e32 v[16:17], s0, v[16:17]
	s_add_nc_u64 s[0:1], s[0:1], 8
	v_cmp_eq_u32_e32 vcc_lo, s0, v10
	s_delay_alu instid0(VALU_DEP_2) | instskip(NEXT) | instid1(VALU_DEP_3)
	v_or_b32_e32 v3, v17, v3
	v_or_b32_e32 v2, v16, v2
	s_or_b32 s11, vcc_lo, s11
	s_delay_alu instid0(SALU_CYCLE_1)
	s_and_not1_b32 exec_lo, exec_lo, s11
	s_cbranch_execnz .LBB13_6
; %bb.7:                                ;   in Loop: Header=BB13_3 Depth=1
	s_or_b32 exec_lo, exec_lo, s11
.LBB13_8:                               ;   in Loop: Header=BB13_3 Depth=1
	s_delay_alu instid0(SALU_CYCLE_1)
	s_or_b32 exec_lo, exec_lo, s5
	v_mov_b64_e32 v[16:17], v[8:9]
.LBB13_9:                               ;   in Loop: Header=BB13_3 Depth=1
	s_or_saveexec_b32 s0, s4
	v_mov_b32_e32 v7, 0
	s_xor_b32 exec_lo, exec_lo, s0
	s_cbranch_execz .LBB13_11
; %bb.10:                               ;   in Loop: Header=BB13_3 Depth=1
	s_wait_loadcnt 0x0
	global_load_b64 v[2:3], v[8:9], off
	v_add_nc_u32_e32 v7, -8, v32
.LBB13_11:                              ;   in Loop: Header=BB13_3 Depth=1
	s_wait_xcnt 0x0
	s_or_b32 exec_lo, exec_lo, s0
	v_add_nc_u64_e32 v[18:19], 8, v[16:17]
                                        ; implicit-def: $vgpr14_vgpr15
	s_mov_b32 s0, exec_lo
	v_cmpx_gt_u32_e32 8, v7
	s_xor_b32 s11, exec_lo, s0
	s_cbranch_execz .LBB13_17
; %bb.12:                               ;   in Loop: Header=BB13_3 Depth=1
	v_mov_b64_e32 v[14:15], 0
	s_mov_b32 s12, exec_lo
	v_cmpx_ne_u32_e32 0, v7
	s_cbranch_execz .LBB13_16
; %bb.13:                               ;   in Loop: Header=BB13_3 Depth=1
	v_mov_b64_e32 v[14:15], 0
	s_mov_b64 s[0:1], 0
	s_mov_b32 s13, 0
	s_mov_b64 s[4:5], 0
.LBB13_14:                              ;   Parent Loop BB13_3 Depth=1
                                        ; =>  This Inner Loop Header: Depth=2
	s_delay_alu instid0(SALU_CYCLE_1) | instskip(SKIP_1) | instid1(SALU_CYCLE_1)
	v_add_nc_u64_e32 v[18:19], s[4:5], v[16:17]
	s_add_nc_u64 s[4:5], s[4:5], 1
	v_cmp_eq_u32_e32 vcc_lo, s4, v7
	global_load_u8 v10, v[18:19], off
	s_wait_xcnt 0x0
	v_mov_b32_e32 v19, s7
	s_or_b32 s13, vcc_lo, s13
	s_wait_loadcnt 0x0
	v_and_b32_e32 v18, 0xffff, v10
	s_delay_alu instid0(VALU_DEP_1) | instskip(SKIP_1) | instid1(VALU_DEP_1)
	v_lshlrev_b64_e32 v[18:19], s0, v[18:19]
	s_add_nc_u64 s[0:1], s[0:1], 8
	v_or_b32_e32 v15, v19, v15
	s_delay_alu instid0(VALU_DEP_2)
	v_or_b32_e32 v14, v18, v14
	s_and_not1_b32 exec_lo, exec_lo, s13
	s_cbranch_execnz .LBB13_14
; %bb.15:                               ;   in Loop: Header=BB13_3 Depth=1
	s_or_b32 exec_lo, exec_lo, s13
.LBB13_16:                              ;   in Loop: Header=BB13_3 Depth=1
	s_delay_alu instid0(SALU_CYCLE_1)
	s_or_b32 exec_lo, exec_lo, s12
	v_mov_b64_e32 v[18:19], v[16:17]
                                        ; implicit-def: $vgpr7
.LBB13_17:                              ;   in Loop: Header=BB13_3 Depth=1
	s_or_saveexec_b32 s0, s11
	v_mov_b32_e32 v10, 0
	s_xor_b32 exec_lo, exec_lo, s0
	s_cbranch_execz .LBB13_19
; %bb.18:                               ;   in Loop: Header=BB13_3 Depth=1
	global_load_b64 v[14:15], v[16:17], off
	v_add_nc_u32_e32 v10, -8, v7
.LBB13_19:                              ;   in Loop: Header=BB13_3 Depth=1
	s_wait_xcnt 0x0
	s_or_b32 exec_lo, exec_lo, s0
	v_add_nc_u64_e32 v[20:21], 8, v[18:19]
	s_mov_b32 s0, exec_lo
	v_cmpx_gt_u32_e32 8, v10
	s_xor_b32 s11, exec_lo, s0
	s_cbranch_execz .LBB13_25
; %bb.20:                               ;   in Loop: Header=BB13_3 Depth=1
	v_mov_b64_e32 v[16:17], 0
	s_mov_b32 s12, exec_lo
	v_cmpx_ne_u32_e32 0, v10
	s_cbranch_execz .LBB13_24
; %bb.21:                               ;   in Loop: Header=BB13_3 Depth=1
	v_mov_b64_e32 v[16:17], 0
	s_mov_b64 s[0:1], 0
	s_mov_b32 s13, 0
	s_mov_b64 s[4:5], 0
.LBB13_22:                              ;   Parent Loop BB13_3 Depth=1
                                        ; =>  This Inner Loop Header: Depth=2
	s_delay_alu instid0(SALU_CYCLE_1) | instskip(SKIP_1) | instid1(SALU_CYCLE_1)
	v_add_nc_u64_e32 v[20:21], s[4:5], v[18:19]
	s_add_nc_u64 s[4:5], s[4:5], 1
	v_cmp_eq_u32_e32 vcc_lo, s4, v10
	global_load_u8 v7, v[20:21], off
	s_wait_xcnt 0x0
	v_mov_b32_e32 v21, s7
	s_or_b32 s13, vcc_lo, s13
	s_wait_loadcnt 0x0
	v_and_b32_e32 v20, 0xffff, v7
	s_delay_alu instid0(VALU_DEP_1) | instskip(SKIP_1) | instid1(VALU_DEP_1)
	v_lshlrev_b64_e32 v[20:21], s0, v[20:21]
	s_add_nc_u64 s[0:1], s[0:1], 8
	v_or_b32_e32 v17, v21, v17
	s_delay_alu instid0(VALU_DEP_2)
	v_or_b32_e32 v16, v20, v16
	s_and_not1_b32 exec_lo, exec_lo, s13
	s_cbranch_execnz .LBB13_22
; %bb.23:                               ;   in Loop: Header=BB13_3 Depth=1
	s_or_b32 exec_lo, exec_lo, s13
.LBB13_24:                              ;   in Loop: Header=BB13_3 Depth=1
	s_delay_alu instid0(SALU_CYCLE_1)
	s_or_b32 exec_lo, exec_lo, s12
	v_mov_b64_e32 v[20:21], v[18:19]
                                        ; implicit-def: $vgpr10
.LBB13_25:                              ;   in Loop: Header=BB13_3 Depth=1
	s_or_saveexec_b32 s0, s11
	v_mov_b32_e32 v7, 0
	s_xor_b32 exec_lo, exec_lo, s0
	s_cbranch_execz .LBB13_27
; %bb.26:                               ;   in Loop: Header=BB13_3 Depth=1
	global_load_b64 v[16:17], v[18:19], off
	v_add_nc_u32_e32 v7, -8, v10
.LBB13_27:                              ;   in Loop: Header=BB13_3 Depth=1
	s_wait_xcnt 0x0
	s_or_b32 exec_lo, exec_lo, s0
	v_add_nc_u64_e32 v[22:23], 8, v[20:21]
                                        ; implicit-def: $vgpr18_vgpr19
	s_mov_b32 s0, exec_lo
	v_cmpx_gt_u32_e32 8, v7
	s_xor_b32 s11, exec_lo, s0
	s_cbranch_execz .LBB13_33
; %bb.28:                               ;   in Loop: Header=BB13_3 Depth=1
	v_mov_b64_e32 v[18:19], 0
	s_mov_b32 s12, exec_lo
	v_cmpx_ne_u32_e32 0, v7
	s_cbranch_execz .LBB13_32
; %bb.29:                               ;   in Loop: Header=BB13_3 Depth=1
	v_mov_b64_e32 v[18:19], 0
	s_mov_b64 s[0:1], 0
	s_mov_b32 s13, 0
	s_mov_b64 s[4:5], 0
.LBB13_30:                              ;   Parent Loop BB13_3 Depth=1
                                        ; =>  This Inner Loop Header: Depth=2
	s_delay_alu instid0(SALU_CYCLE_1) | instskip(SKIP_1) | instid1(SALU_CYCLE_1)
	v_add_nc_u64_e32 v[22:23], s[4:5], v[20:21]
	s_add_nc_u64 s[4:5], s[4:5], 1
	v_cmp_eq_u32_e32 vcc_lo, s4, v7
	global_load_u8 v10, v[22:23], off
	s_wait_xcnt 0x0
	v_mov_b32_e32 v23, s7
	s_or_b32 s13, vcc_lo, s13
	s_wait_loadcnt 0x0
	v_and_b32_e32 v22, 0xffff, v10
	s_delay_alu instid0(VALU_DEP_1) | instskip(SKIP_1) | instid1(VALU_DEP_1)
	v_lshlrev_b64_e32 v[22:23], s0, v[22:23]
	s_add_nc_u64 s[0:1], s[0:1], 8
	v_or_b32_e32 v19, v23, v19
	s_delay_alu instid0(VALU_DEP_2)
	v_or_b32_e32 v18, v22, v18
	s_and_not1_b32 exec_lo, exec_lo, s13
	s_cbranch_execnz .LBB13_30
; %bb.31:                               ;   in Loop: Header=BB13_3 Depth=1
	s_or_b32 exec_lo, exec_lo, s13
.LBB13_32:                              ;   in Loop: Header=BB13_3 Depth=1
	s_delay_alu instid0(SALU_CYCLE_1)
	s_or_b32 exec_lo, exec_lo, s12
	v_mov_b64_e32 v[22:23], v[20:21]
                                        ; implicit-def: $vgpr7
.LBB13_33:                              ;   in Loop: Header=BB13_3 Depth=1
	s_or_saveexec_b32 s0, s11
	v_mov_b32_e32 v10, 0
	s_xor_b32 exec_lo, exec_lo, s0
	s_cbranch_execz .LBB13_35
; %bb.34:                               ;   in Loop: Header=BB13_3 Depth=1
	global_load_b64 v[18:19], v[20:21], off
	v_add_nc_u32_e32 v10, -8, v7
.LBB13_35:                              ;   in Loop: Header=BB13_3 Depth=1
	s_wait_xcnt 0x0
	s_or_b32 exec_lo, exec_lo, s0
	v_add_nc_u64_e32 v[24:25], 8, v[22:23]
	s_mov_b32 s0, exec_lo
	v_cmpx_gt_u32_e32 8, v10
	s_xor_b32 s11, exec_lo, s0
	s_cbranch_execz .LBB13_41
; %bb.36:                               ;   in Loop: Header=BB13_3 Depth=1
	v_mov_b64_e32 v[20:21], 0
	s_mov_b32 s12, exec_lo
	v_cmpx_ne_u32_e32 0, v10
	s_cbranch_execz .LBB13_40
; %bb.37:                               ;   in Loop: Header=BB13_3 Depth=1
	v_mov_b64_e32 v[20:21], 0
	s_mov_b64 s[0:1], 0
	s_mov_b32 s13, 0
	s_mov_b64 s[4:5], 0
.LBB13_38:                              ;   Parent Loop BB13_3 Depth=1
                                        ; =>  This Inner Loop Header: Depth=2
	s_delay_alu instid0(SALU_CYCLE_1) | instskip(SKIP_1) | instid1(SALU_CYCLE_1)
	v_add_nc_u64_e32 v[24:25], s[4:5], v[22:23]
	s_add_nc_u64 s[4:5], s[4:5], 1
	v_cmp_eq_u32_e32 vcc_lo, s4, v10
	global_load_u8 v7, v[24:25], off
	s_wait_xcnt 0x0
	v_mov_b32_e32 v25, s7
	s_or_b32 s13, vcc_lo, s13
	s_wait_loadcnt 0x0
	v_and_b32_e32 v24, 0xffff, v7
	s_delay_alu instid0(VALU_DEP_1) | instskip(SKIP_1) | instid1(VALU_DEP_1)
	v_lshlrev_b64_e32 v[24:25], s0, v[24:25]
	s_add_nc_u64 s[0:1], s[0:1], 8
	v_or_b32_e32 v21, v25, v21
	s_delay_alu instid0(VALU_DEP_2)
	v_or_b32_e32 v20, v24, v20
	s_and_not1_b32 exec_lo, exec_lo, s13
	s_cbranch_execnz .LBB13_38
; %bb.39:                               ;   in Loop: Header=BB13_3 Depth=1
	s_or_b32 exec_lo, exec_lo, s13
.LBB13_40:                              ;   in Loop: Header=BB13_3 Depth=1
	s_delay_alu instid0(SALU_CYCLE_1)
	s_or_b32 exec_lo, exec_lo, s12
	v_mov_b64_e32 v[24:25], v[22:23]
                                        ; implicit-def: $vgpr10
.LBB13_41:                              ;   in Loop: Header=BB13_3 Depth=1
	s_or_saveexec_b32 s0, s11
	v_mov_b32_e32 v7, 0
	s_xor_b32 exec_lo, exec_lo, s0
	s_cbranch_execz .LBB13_43
; %bb.42:                               ;   in Loop: Header=BB13_3 Depth=1
	global_load_b64 v[20:21], v[22:23], off
	v_add_nc_u32_e32 v7, -8, v10
.LBB13_43:                              ;   in Loop: Header=BB13_3 Depth=1
	s_wait_xcnt 0x0
	s_or_b32 exec_lo, exec_lo, s0
	v_add_nc_u64_e32 v[26:27], 8, v[24:25]
                                        ; implicit-def: $vgpr22_vgpr23
	s_mov_b32 s0, exec_lo
	v_cmpx_gt_u32_e32 8, v7
	s_xor_b32 s11, exec_lo, s0
	s_cbranch_execz .LBB13_49
; %bb.44:                               ;   in Loop: Header=BB13_3 Depth=1
	v_mov_b64_e32 v[22:23], 0
	s_mov_b32 s12, exec_lo
	v_cmpx_ne_u32_e32 0, v7
	s_cbranch_execz .LBB13_48
; %bb.45:                               ;   in Loop: Header=BB13_3 Depth=1
	v_mov_b64_e32 v[22:23], 0
	s_mov_b64 s[0:1], 0
	s_mov_b32 s13, 0
	s_mov_b64 s[4:5], 0
.LBB13_46:                              ;   Parent Loop BB13_3 Depth=1
                                        ; =>  This Inner Loop Header: Depth=2
	s_delay_alu instid0(SALU_CYCLE_1) | instskip(SKIP_1) | instid1(SALU_CYCLE_1)
	v_add_nc_u64_e32 v[26:27], s[4:5], v[24:25]
	s_add_nc_u64 s[4:5], s[4:5], 1
	v_cmp_eq_u32_e32 vcc_lo, s4, v7
	global_load_u8 v10, v[26:27], off
	s_wait_xcnt 0x0
	v_mov_b32_e32 v27, s7
	s_or_b32 s13, vcc_lo, s13
	s_wait_loadcnt 0x0
	v_and_b32_e32 v26, 0xffff, v10
	s_delay_alu instid0(VALU_DEP_1) | instskip(SKIP_1) | instid1(VALU_DEP_1)
	v_lshlrev_b64_e32 v[26:27], s0, v[26:27]
	s_add_nc_u64 s[0:1], s[0:1], 8
	v_or_b32_e32 v23, v27, v23
	s_delay_alu instid0(VALU_DEP_2)
	v_or_b32_e32 v22, v26, v22
	s_and_not1_b32 exec_lo, exec_lo, s13
	s_cbranch_execnz .LBB13_46
; %bb.47:                               ;   in Loop: Header=BB13_3 Depth=1
	s_or_b32 exec_lo, exec_lo, s13
.LBB13_48:                              ;   in Loop: Header=BB13_3 Depth=1
	s_delay_alu instid0(SALU_CYCLE_1)
	s_or_b32 exec_lo, exec_lo, s12
	v_mov_b64_e32 v[26:27], v[24:25]
                                        ; implicit-def: $vgpr7
.LBB13_49:                              ;   in Loop: Header=BB13_3 Depth=1
	s_or_saveexec_b32 s0, s11
	v_mov_b32_e32 v10, 0
	s_xor_b32 exec_lo, exec_lo, s0
	s_cbranch_execz .LBB13_51
; %bb.50:                               ;   in Loop: Header=BB13_3 Depth=1
	global_load_b64 v[22:23], v[24:25], off
	v_add_nc_u32_e32 v10, -8, v7
.LBB13_51:                              ;   in Loop: Header=BB13_3 Depth=1
	s_wait_xcnt 0x0
	s_or_b32 exec_lo, exec_lo, s0
	s_delay_alu instid0(SALU_CYCLE_1) | instskip(NEXT) | instid1(VALU_DEP_1)
	s_mov_b32 s0, exec_lo
	v_cmpx_gt_u32_e32 8, v10
	s_xor_b32 s4, exec_lo, s0
	s_cbranch_execz .LBB13_57
; %bb.52:                               ;   in Loop: Header=BB13_3 Depth=1
	v_mov_b64_e32 v[24:25], 0
	s_mov_b32 s5, exec_lo
	v_cmpx_ne_u32_e32 0, v10
	s_cbranch_execz .LBB13_56
; %bb.53:                               ;   in Loop: Header=BB13_3 Depth=1
	v_mov_b64_e32 v[24:25], 0
	s_mov_b64 s[0:1], 0
	s_mov_b32 s11, 0
.LBB13_54:                              ;   Parent Loop BB13_3 Depth=1
                                        ; =>  This Inner Loop Header: Depth=2
	global_load_u8 v7, v[26:27], off
	v_dual_mov_b32 v29, s7 :: v_dual_add_nc_u32 v10, -1, v10
	s_wait_xcnt 0x0
	v_add_nc_u64_e32 v[26:27], 1, v[26:27]
	s_delay_alu instid0(VALU_DEP_2) | instskip(SKIP_3) | instid1(VALU_DEP_1)
	v_cmp_eq_u32_e32 vcc_lo, 0, v10
	s_or_b32 s11, vcc_lo, s11
	s_wait_loadcnt 0x0
	v_and_b32_e32 v28, 0xffff, v7
	v_lshlrev_b64_e32 v[28:29], s0, v[28:29]
	s_add_nc_u64 s[0:1], s[0:1], 8
	s_delay_alu instid0(VALU_DEP_1) | instskip(NEXT) | instid1(VALU_DEP_2)
	v_or_b32_e32 v25, v29, v25
	v_or_b32_e32 v24, v28, v24
	s_and_not1_b32 exec_lo, exec_lo, s11
	s_cbranch_execnz .LBB13_54
; %bb.55:                               ;   in Loop: Header=BB13_3 Depth=1
	s_or_b32 exec_lo, exec_lo, s11
.LBB13_56:                              ;   in Loop: Header=BB13_3 Depth=1
	s_delay_alu instid0(SALU_CYCLE_1)
	s_or_b32 exec_lo, exec_lo, s5
                                        ; implicit-def: $vgpr26_vgpr27
.LBB13_57:                              ;   in Loop: Header=BB13_3 Depth=1
	s_and_not1_saveexec_b32 s0, s4
	s_cbranch_execz .LBB13_59
; %bb.58:                               ;   in Loop: Header=BB13_3 Depth=1
	global_load_b64 v[24:25], v[26:27], off
.LBB13_59:                              ;   in Loop: Header=BB13_3 Depth=1
	s_wait_xcnt 0x0
	s_or_b32 exec_lo, exec_lo, s0
	v_readfirstlane_b32 s0, v30
	v_mov_b64_e32 v[34:35], 0
	s_delay_alu instid0(VALU_DEP_2)
	v_cmp_eq_u32_e64 s0, s0, v30
	s_and_saveexec_b32 s1, s0
	s_cbranch_execz .LBB13_65
; %bb.60:                               ;   in Loop: Header=BB13_3 Depth=1
	s_wait_kmcnt 0x0
	global_load_b64 v[28:29], v11, s[2:3] offset:24 scope:SCOPE_SYS
	s_wait_loadcnt 0x0
	global_inv scope:SCOPE_SYS
	s_clause 0x1
	global_load_b64 v[26:27], v11, s[2:3] offset:40
	global_load_b64 v[34:35], v11, s[2:3]
	s_mov_b32 s4, exec_lo
	s_wait_loadcnt 0x1
	v_and_b32_e32 v26, v26, v28
	v_and_b32_e32 v27, v27, v29
	s_delay_alu instid0(VALU_DEP_1) | instskip(SKIP_1) | instid1(VALU_DEP_1)
	v_mul_u64_e32 v[26:27], 24, v[26:27]
	s_wait_loadcnt 0x0
	v_add_nc_u64_e32 v[26:27], v[34:35], v[26:27]
	global_load_b64 v[26:27], v[26:27], off scope:SCOPE_SYS
	s_wait_xcnt 0x0
	s_wait_loadcnt 0x0
	global_atomic_cmpswap_b64 v[34:35], v11, v[26:29], s[2:3] offset:24 th:TH_ATOMIC_RETURN scope:SCOPE_SYS
	s_wait_loadcnt 0x0
	global_inv scope:SCOPE_SYS
	s_wait_xcnt 0x0
	v_cmpx_ne_u64_e64 v[34:35], v[28:29]
	s_cbranch_execz .LBB13_64
; %bb.61:                               ;   in Loop: Header=BB13_3 Depth=1
	s_mov_b32 s5, 0
.LBB13_62:                              ;   Parent Loop BB13_3 Depth=1
                                        ; =>  This Inner Loop Header: Depth=2
	s_sleep 1
	s_clause 0x1
	global_load_b64 v[26:27], v11, s[2:3] offset:40
	global_load_b64 v[36:37], v11, s[2:3]
	v_mov_b64_e32 v[28:29], v[34:35]
	s_wait_loadcnt 0x1
	s_delay_alu instid0(VALU_DEP_1) | instskip(SKIP_1) | instid1(VALU_DEP_1)
	v_and_b32_e32 v7, v26, v28
	s_wait_loadcnt 0x0
	v_mad_nc_u64_u32 v[34:35], v7, 24, v[36:37]
	s_delay_alu instid0(VALU_DEP_3) | instskip(NEXT) | instid1(VALU_DEP_1)
	v_and_b32_e32 v7, v27, v29
	v_mad_u32 v35, v7, 24, v35
	global_load_b64 v[26:27], v[34:35], off scope:SCOPE_SYS
	s_wait_xcnt 0x0
	s_wait_loadcnt 0x0
	global_atomic_cmpswap_b64 v[34:35], v11, v[26:29], s[2:3] offset:24 th:TH_ATOMIC_RETURN scope:SCOPE_SYS
	s_wait_loadcnt 0x0
	global_inv scope:SCOPE_SYS
	v_cmp_eq_u64_e32 vcc_lo, v[34:35], v[28:29]
	s_or_b32 s5, vcc_lo, s5
	s_wait_xcnt 0x0
	s_and_not1_b32 exec_lo, exec_lo, s5
	s_cbranch_execnz .LBB13_62
; %bb.63:                               ;   in Loop: Header=BB13_3 Depth=1
	s_or_b32 exec_lo, exec_lo, s5
.LBB13_64:                              ;   in Loop: Header=BB13_3 Depth=1
	s_delay_alu instid0(SALU_CYCLE_1)
	s_or_b32 exec_lo, exec_lo, s4
.LBB13_65:                              ;   in Loop: Header=BB13_3 Depth=1
	s_delay_alu instid0(SALU_CYCLE_1)
	s_or_b32 exec_lo, exec_lo, s1
	s_wait_kmcnt 0x0
	s_clause 0x1
	global_load_b64 v[36:37], v11, s[2:3] offset:40
	global_load_b128 v[26:29], v11, s[2:3]
	v_readfirstlane_b32 s4, v34
	v_readfirstlane_b32 s5, v35
	s_mov_b32 s1, exec_lo
	s_wait_loadcnt 0x1
	v_and_b32_e32 v36, s4, v36
	v_and_b32_e32 v37, s5, v37
	s_delay_alu instid0(VALU_DEP_1) | instskip(SKIP_1) | instid1(VALU_DEP_1)
	v_mul_u64_e32 v[34:35], 24, v[36:37]
	s_wait_loadcnt 0x0
	v_add_nc_u64_e32 v[34:35], v[26:27], v[34:35]
	s_wait_xcnt 0x0
	s_and_saveexec_b32 s11, s0
	s_cbranch_execz .LBB13_67
; %bb.66:                               ;   in Loop: Header=BB13_3 Depth=1
	v_mov_b32_e32 v10, s1
	global_store_b128 v[34:35], v[10:13], off offset:8
.LBB13_67:                              ;   in Loop: Header=BB13_3 Depth=1
	s_wait_xcnt 0x0
	s_or_b32 exec_lo, exec_lo, s11
	v_cmp_gt_u64_e32 vcc_lo, 57, v[4:5]
	v_lshlrev_b64_e32 v[36:37], 12, v[36:37]
	v_and_b32_e32 v0, 0xffffff1f, v0
	v_lshl_add_u32 v31, v32, 2, 28
	v_lshlrev_b32_e32 v10, 6, v30
	v_cndmask_b32_e32 v7, 0, v6, vcc_lo
	v_add_nc_u64_e32 v[28:29], v[28:29], v[36:37]
	s_delay_alu instid0(VALU_DEP_2) | instskip(NEXT) | instid1(VALU_DEP_2)
	v_or_b32_e32 v0, v0, v7
	v_readfirstlane_b32 s12, v28
	s_delay_alu instid0(VALU_DEP_3) | instskip(NEXT) | instid1(VALU_DEP_3)
	v_readfirstlane_b32 s13, v29
	v_and_or_b32 v0, 0x1e0, v31, v0
	s_clause 0x3
	global_store_b128 v10, v[0:3], s[12:13]
	global_store_b128 v10, v[14:17], s[12:13] offset:16
	global_store_b128 v10, v[18:21], s[12:13] offset:32
	;; [unrolled: 1-line block ×3, first 2 shown]
	s_wait_xcnt 0x0
	s_and_saveexec_b32 s1, s0
	s_cbranch_execz .LBB13_75
; %bb.68:                               ;   in Loop: Header=BB13_3 Depth=1
	s_clause 0x1
	global_load_b64 v[18:19], v11, s[2:3] offset:32 scope:SCOPE_SYS
	global_load_b64 v[0:1], v11, s[2:3] offset:40
	s_mov_b32 s11, exec_lo
	v_dual_mov_b32 v16, s4 :: v_dual_mov_b32 v17, s5
	s_wait_loadcnt 0x0
	v_and_b32_e32 v1, s5, v1
	v_and_b32_e32 v0, s4, v0
	s_delay_alu instid0(VALU_DEP_1) | instskip(NEXT) | instid1(VALU_DEP_1)
	v_mul_u64_e32 v[0:1], 24, v[0:1]
	v_add_nc_u64_e32 v[14:15], v[26:27], v[0:1]
	global_store_b64 v[14:15], v[18:19], off
	global_wb scope:SCOPE_SYS
	s_wait_storecnt 0x0
	s_wait_xcnt 0x0
	global_atomic_cmpswap_b64 v[2:3], v11, v[16:19], s[2:3] offset:32 th:TH_ATOMIC_RETURN scope:SCOPE_SYS
	s_wait_loadcnt 0x0
	v_cmpx_ne_u64_e64 v[2:3], v[18:19]
	s_cbranch_execz .LBB13_71
; %bb.69:                               ;   in Loop: Header=BB13_3 Depth=1
	s_mov_b32 s12, 0
.LBB13_70:                              ;   Parent Loop BB13_3 Depth=1
                                        ; =>  This Inner Loop Header: Depth=2
	v_dual_mov_b32 v0, s4 :: v_dual_mov_b32 v1, s5
	s_sleep 1
	global_store_b64 v[14:15], v[2:3], off
	global_wb scope:SCOPE_SYS
	s_wait_storecnt 0x0
	s_wait_xcnt 0x0
	global_atomic_cmpswap_b64 v[0:1], v11, v[0:3], s[2:3] offset:32 th:TH_ATOMIC_RETURN scope:SCOPE_SYS
	s_wait_loadcnt 0x0
	v_cmp_eq_u64_e32 vcc_lo, v[0:1], v[2:3]
	v_mov_b64_e32 v[2:3], v[0:1]
	s_or_b32 s12, vcc_lo, s12
	s_delay_alu instid0(SALU_CYCLE_1)
	s_and_not1_b32 exec_lo, exec_lo, s12
	s_cbranch_execnz .LBB13_70
.LBB13_71:                              ;   in Loop: Header=BB13_3 Depth=1
	s_or_b32 exec_lo, exec_lo, s11
	global_load_b64 v[0:1], v11, s[2:3] offset:16
	s_mov_b32 s12, exec_lo
	s_mov_b32 s11, exec_lo
	v_mbcnt_lo_u32_b32 v2, s12, 0
	s_wait_xcnt 0x0
	s_delay_alu instid0(VALU_DEP_1)
	v_cmpx_eq_u32_e32 0, v2
	s_cbranch_execz .LBB13_73
; %bb.72:                               ;   in Loop: Header=BB13_3 Depth=1
	s_bcnt1_i32_b32 s12, s12
	s_delay_alu instid0(SALU_CYCLE_1)
	v_dual_mov_b32 v3, v11 :: v_dual_mov_b32 v2, s12
	global_wb scope:SCOPE_SYS
	s_wait_loadcnt 0x0
	s_wait_storecnt 0x0
	global_atomic_add_u64 v[0:1], v[2:3], off offset:8 scope:SCOPE_SYS
.LBB13_73:                              ;   in Loop: Header=BB13_3 Depth=1
	s_wait_xcnt 0x0
	s_or_b32 exec_lo, exec_lo, s11
	s_wait_loadcnt 0x0
	global_load_b64 v[2:3], v[0:1], off offset:16
	s_wait_loadcnt 0x0
	v_cmp_eq_u64_e32 vcc_lo, 0, v[2:3]
	s_cbranch_vccnz .LBB13_75
; %bb.74:                               ;   in Loop: Header=BB13_3 Depth=1
	global_load_b32 v0, v[0:1], off offset:24
	s_wait_xcnt 0x0
	v_mov_b32_e32 v1, v11
	s_wait_loadcnt 0x0
	v_readfirstlane_b32 s11, v0
	global_wb scope:SCOPE_SYS
	s_wait_storecnt 0x0
	global_store_b64 v[2:3], v[0:1], off scope:SCOPE_SYS
	s_and_b32 m0, s11, 0xffffff
	s_sendmsg sendmsg(MSG_INTERRUPT)
.LBB13_75:                              ;   in Loop: Header=BB13_3 Depth=1
	s_wait_xcnt 0x0
	s_or_b32 exec_lo, exec_lo, s1
	v_add_nc_u64_e32 v[0:1], v[28:29], v[10:11]
	s_branch .LBB13_79
.LBB13_76:                              ;   in Loop: Header=BB13_79 Depth=2
	s_wait_xcnt 0x0
	s_or_b32 exec_lo, exec_lo, s1
	s_delay_alu instid0(VALU_DEP_1)
	v_readfirstlane_b32 s1, v2
	s_cmp_eq_u32 s1, 0
	s_cbranch_scc1 .LBB13_78
; %bb.77:                               ;   in Loop: Header=BB13_79 Depth=2
	s_sleep 1
	s_cbranch_execnz .LBB13_79
	s_branch .LBB13_81
.LBB13_78:                              ;   in Loop: Header=BB13_3 Depth=1
	s_branch .LBB13_81
.LBB13_79:                              ;   Parent Loop BB13_3 Depth=1
                                        ; =>  This Inner Loop Header: Depth=2
	v_mov_b32_e32 v2, 1
	s_and_saveexec_b32 s1, s0
	s_cbranch_execz .LBB13_76
; %bb.80:                               ;   in Loop: Header=BB13_79 Depth=2
	global_load_b32 v2, v[34:35], off offset:20 scope:SCOPE_SYS
	s_wait_loadcnt 0x0
	global_inv scope:SCOPE_SYS
	v_and_b32_e32 v2, 1, v2
	s_branch .LBB13_76
.LBB13_81:                              ;   in Loop: Header=BB13_3 Depth=1
	global_load_b128 v[0:3], v[0:1], off
	s_wait_xcnt 0x0
	s_and_saveexec_b32 s11, s0
	s_cbranch_execz .LBB13_2
; %bb.82:                               ;   in Loop: Header=BB13_3 Depth=1
	s_wait_loadcnt 0x0
	s_clause 0x2
	global_load_b64 v[2:3], v11, s[2:3] offset:40
	global_load_b64 v[18:19], v11, s[2:3] offset:24 scope:SCOPE_SYS
	global_load_b64 v[14:15], v11, s[2:3]
	s_wait_loadcnt 0x2
	v_readfirstlane_b32 s12, v2
	v_readfirstlane_b32 s13, v3
	s_add_nc_u64 s[0:1], s[12:13], 1
	s_delay_alu instid0(SALU_CYCLE_1) | instskip(NEXT) | instid1(SALU_CYCLE_1)
	s_add_nc_u64 s[4:5], s[0:1], s[4:5]
	s_cmp_eq_u64 s[4:5], 0
	s_cselect_b32 s1, s1, s5
	s_cselect_b32 s0, s0, s4
	s_delay_alu instid0(SALU_CYCLE_1) | instskip(SKIP_1) | instid1(SALU_CYCLE_1)
	v_dual_mov_b32 v17, s1 :: v_dual_mov_b32 v16, s0
	s_and_b64 s[4:5], s[0:1], s[12:13]
	s_mul_u64 s[4:5], s[4:5], 24
	s_wait_loadcnt 0x0
	v_add_nc_u64_e32 v[2:3], s[4:5], v[14:15]
	global_store_b64 v[2:3], v[18:19], off
	global_wb scope:SCOPE_SYS
	s_wait_storecnt 0x0
	s_wait_xcnt 0x0
	global_atomic_cmpswap_b64 v[16:17], v11, v[16:19], s[2:3] offset:24 th:TH_ATOMIC_RETURN scope:SCOPE_SYS
	s_wait_loadcnt 0x0
	v_cmp_ne_u64_e32 vcc_lo, v[16:17], v[18:19]
	s_and_b32 exec_lo, exec_lo, vcc_lo
	s_cbranch_execz .LBB13_2
; %bb.83:                               ;   in Loop: Header=BB13_3 Depth=1
	s_mov_b32 s4, 0
.LBB13_84:                              ;   Parent Loop BB13_3 Depth=1
                                        ; =>  This Inner Loop Header: Depth=2
	v_dual_mov_b32 v14, s0 :: v_dual_mov_b32 v15, s1
	s_sleep 1
	global_store_b64 v[2:3], v[16:17], off
	global_wb scope:SCOPE_SYS
	s_wait_storecnt 0x0
	s_wait_xcnt 0x0
	global_atomic_cmpswap_b64 v[14:15], v11, v[14:17], s[2:3] offset:24 th:TH_ATOMIC_RETURN scope:SCOPE_SYS
	s_wait_loadcnt 0x0
	v_cmp_eq_u64_e32 vcc_lo, v[14:15], v[16:17]
	v_mov_b64_e32 v[16:17], v[14:15]
	s_or_b32 s4, vcc_lo, s4
	s_delay_alu instid0(SALU_CYCLE_1)
	s_and_not1_b32 exec_lo, exec_lo, s4
	s_cbranch_execnz .LBB13_84
	s_branch .LBB13_2
.LBB13_85:
	s_or_b32 exec_lo, exec_lo, s10
                                        ; implicit-def: $vgpr0
                                        ; implicit-def: $vgpr30
                                        ; implicit-def: $vgpr1
.LBB13_86:
	s_and_not1_saveexec_b32 s6, s6
	s_cbranch_execz .LBB13_108
; %bb.87:
	s_load_b64 s[2:3], s[8:9], 0x50
	v_readfirstlane_b32 s0, v30
	v_mov_b64_e32 v[8:9], 0
	s_delay_alu instid0(VALU_DEP_2)
	v_cmp_eq_u32_e64 s0, s0, v30
	s_and_saveexec_b32 s1, s0
	s_cbranch_execz .LBB13_93
; %bb.88:
	s_wait_loadcnt 0x0
	v_mov_b32_e32 v2, 0
	s_mov_b32 s4, exec_lo
	s_wait_kmcnt 0x0
	global_load_b64 v[6:7], v2, s[2:3] offset:24 scope:SCOPE_SYS
	s_wait_loadcnt 0x0
	global_inv scope:SCOPE_SYS
	s_clause 0x1
	global_load_b64 v[4:5], v2, s[2:3] offset:40
	global_load_b64 v[8:9], v2, s[2:3]
	s_wait_loadcnt 0x1
	v_and_b32_e32 v4, v4, v6
	v_and_b32_e32 v5, v5, v7
	s_delay_alu instid0(VALU_DEP_1) | instskip(SKIP_1) | instid1(VALU_DEP_1)
	v_mul_u64_e32 v[4:5], 24, v[4:5]
	s_wait_loadcnt 0x0
	v_add_nc_u64_e32 v[4:5], v[8:9], v[4:5]
	global_load_b64 v[4:5], v[4:5], off scope:SCOPE_SYS
	s_wait_xcnt 0x0
	s_wait_loadcnt 0x0
	global_atomic_cmpswap_b64 v[8:9], v2, v[4:7], s[2:3] offset:24 th:TH_ATOMIC_RETURN scope:SCOPE_SYS
	s_wait_loadcnt 0x0
	global_inv scope:SCOPE_SYS
	s_wait_xcnt 0x0
	v_cmpx_ne_u64_e64 v[8:9], v[6:7]
	s_cbranch_execz .LBB13_92
; %bb.89:
	s_mov_b32 s5, 0
.LBB13_90:                              ; =>This Inner Loop Header: Depth=1
	s_sleep 1
	s_clause 0x1
	global_load_b64 v[4:5], v2, s[2:3] offset:40
	global_load_b64 v[10:11], v2, s[2:3]
	v_mov_b64_e32 v[6:7], v[8:9]
	s_wait_loadcnt 0x1
	s_delay_alu instid0(VALU_DEP_1) | instskip(SKIP_1) | instid1(VALU_DEP_1)
	v_and_b32_e32 v3, v4, v6
	s_wait_loadcnt 0x0
	v_mad_nc_u64_u32 v[8:9], v3, 24, v[10:11]
	s_delay_alu instid0(VALU_DEP_3) | instskip(NEXT) | instid1(VALU_DEP_1)
	v_and_b32_e32 v3, v5, v7
	v_mad_u32 v9, v3, 24, v9
	global_load_b64 v[4:5], v[8:9], off scope:SCOPE_SYS
	s_wait_xcnt 0x0
	s_wait_loadcnt 0x0
	global_atomic_cmpswap_b64 v[8:9], v2, v[4:7], s[2:3] offset:24 th:TH_ATOMIC_RETURN scope:SCOPE_SYS
	s_wait_loadcnt 0x0
	global_inv scope:SCOPE_SYS
	v_cmp_eq_u64_e32 vcc_lo, v[8:9], v[6:7]
	s_or_b32 s5, vcc_lo, s5
	s_wait_xcnt 0x0
	s_and_not1_b32 exec_lo, exec_lo, s5
	s_cbranch_execnz .LBB13_90
; %bb.91:
	s_or_b32 exec_lo, exec_lo, s5
.LBB13_92:
	s_delay_alu instid0(SALU_CYCLE_1)
	s_or_b32 exec_lo, exec_lo, s4
.LBB13_93:
	s_delay_alu instid0(SALU_CYCLE_1)
	s_or_b32 exec_lo, exec_lo, s1
	v_readfirstlane_b32 s4, v8
	s_wait_loadcnt 0x0
	v_mov_b32_e32 v2, 0
	v_readfirstlane_b32 s5, v9
	s_mov_b32 s1, exec_lo
	s_wait_kmcnt 0x0
	s_clause 0x1
	global_load_b64 v[10:11], v2, s[2:3] offset:40
	global_load_b128 v[4:7], v2, s[2:3]
	s_wait_loadcnt 0x1
	v_and_b32_e32 v10, s4, v10
	v_and_b32_e32 v11, s5, v11
	s_delay_alu instid0(VALU_DEP_1) | instskip(SKIP_1) | instid1(VALU_DEP_1)
	v_mul_u64_e32 v[8:9], 24, v[10:11]
	s_wait_loadcnt 0x0
	v_add_nc_u64_e32 v[8:9], v[4:5], v[8:9]
	s_wait_xcnt 0x0
	s_and_saveexec_b32 s7, s0
	s_cbranch_execz .LBB13_95
; %bb.94:
	v_mov_b64_e32 v[14:15], 0x100000002
	v_dual_mov_b32 v12, s1 :: v_dual_mov_b32 v13, v2
	global_store_b128 v[8:9], v[12:15], off offset:8
.LBB13_95:
	s_wait_xcnt 0x0
	s_or_b32 exec_lo, exec_lo, s7
	v_lshlrev_b64_e32 v[10:11], 12, v[10:11]
	s_mov_b32 s8, 0
	v_and_or_b32 v0, 0xffffff1f, v0, 32
	s_mov_b32 s10, s8
	s_mov_b32 s11, s8
	;; [unrolled: 1-line block ×3, first 2 shown]
	v_dual_mov_b32 v3, v2 :: v_dual_lshlrev_b32 v14, 6, v30
	v_add_nc_u64_e32 v[6:7], v[6:7], v[10:11]
	v_mov_b64_e32 v[12:13], s[10:11]
	v_mov_b64_e32 v[10:11], s[8:9]
	s_delay_alu instid0(VALU_DEP_3) | instskip(NEXT) | instid1(VALU_DEP_4)
	v_readfirstlane_b32 s12, v6
	v_readfirstlane_b32 s13, v7
	s_clause 0x3
	global_store_b128 v14, v[0:3], s[12:13]
	global_store_b128 v14, v[10:13], s[12:13] offset:16
	global_store_b128 v14, v[10:13], s[12:13] offset:32
	;; [unrolled: 1-line block ×3, first 2 shown]
	s_wait_xcnt 0x0
	s_and_saveexec_b32 s1, s0
	s_cbranch_execz .LBB13_102
; %bb.96:
	v_dual_mov_b32 v6, 0 :: v_dual_mov_b32 v11, s5
	s_mov_b32 s7, exec_lo
	s_clause 0x1
	global_load_b64 v[12:13], v6, s[2:3] offset:32 scope:SCOPE_SYS
	global_load_b64 v[0:1], v6, s[2:3] offset:40
	s_wait_loadcnt 0x0
	v_dual_mov_b32 v10, s4 :: v_dual_bitop2_b32 v1, s5, v1 bitop3:0x40
	v_and_b32_e32 v0, s4, v0
	s_delay_alu instid0(VALU_DEP_1) | instskip(NEXT) | instid1(VALU_DEP_1)
	v_mul_u64_e32 v[0:1], 24, v[0:1]
	v_add_nc_u64_e32 v[4:5], v[4:5], v[0:1]
	global_store_b64 v[4:5], v[12:13], off
	global_wb scope:SCOPE_SYS
	s_wait_storecnt 0x0
	s_wait_xcnt 0x0
	global_atomic_cmpswap_b64 v[2:3], v6, v[10:13], s[2:3] offset:32 th:TH_ATOMIC_RETURN scope:SCOPE_SYS
	s_wait_loadcnt 0x0
	v_cmpx_ne_u64_e64 v[2:3], v[12:13]
	s_cbranch_execz .LBB13_98
.LBB13_97:                              ; =>This Inner Loop Header: Depth=1
	v_dual_mov_b32 v0, s4 :: v_dual_mov_b32 v1, s5
	s_sleep 1
	global_store_b64 v[4:5], v[2:3], off
	global_wb scope:SCOPE_SYS
	s_wait_storecnt 0x0
	s_wait_xcnt 0x0
	global_atomic_cmpswap_b64 v[0:1], v6, v[0:3], s[2:3] offset:32 th:TH_ATOMIC_RETURN scope:SCOPE_SYS
	s_wait_loadcnt 0x0
	v_cmp_eq_u64_e32 vcc_lo, v[0:1], v[2:3]
	v_mov_b64_e32 v[2:3], v[0:1]
	s_or_b32 s8, vcc_lo, s8
	s_delay_alu instid0(SALU_CYCLE_1)
	s_and_not1_b32 exec_lo, exec_lo, s8
	s_cbranch_execnz .LBB13_97
.LBB13_98:
	s_or_b32 exec_lo, exec_lo, s7
	v_mov_b32_e32 v3, 0
	s_mov_b32 s8, exec_lo
	s_mov_b32 s7, exec_lo
	v_mbcnt_lo_u32_b32 v2, s8, 0
	global_load_b64 v[0:1], v3, s[2:3] offset:16
	s_wait_xcnt 0x0
	v_cmpx_eq_u32_e32 0, v2
	s_cbranch_execz .LBB13_100
; %bb.99:
	s_bcnt1_i32_b32 s8, s8
	s_delay_alu instid0(SALU_CYCLE_1)
	v_mov_b32_e32 v2, s8
	global_wb scope:SCOPE_SYS
	s_wait_loadcnt 0x0
	s_wait_storecnt 0x0
	global_atomic_add_u64 v[0:1], v[2:3], off offset:8 scope:SCOPE_SYS
.LBB13_100:
	s_wait_xcnt 0x0
	s_or_b32 exec_lo, exec_lo, s7
	s_wait_loadcnt 0x0
	global_load_b64 v[2:3], v[0:1], off offset:16
	s_wait_loadcnt 0x0
	v_cmp_eq_u64_e32 vcc_lo, 0, v[2:3]
	s_cbranch_vccnz .LBB13_102
; %bb.101:
	global_load_b32 v0, v[0:1], off offset:24
	s_wait_xcnt 0x0
	v_mov_b32_e32 v1, 0
	s_wait_loadcnt 0x0
	v_readfirstlane_b32 s7, v0
	global_wb scope:SCOPE_SYS
	s_wait_storecnt 0x0
	global_store_b64 v[2:3], v[0:1], off scope:SCOPE_SYS
	s_and_b32 m0, s7, 0xffffff
	s_sendmsg sendmsg(MSG_INTERRUPT)
.LBB13_102:
	s_wait_xcnt 0x0
	s_or_b32 exec_lo, exec_lo, s1
	s_branch .LBB13_106
.LBB13_103:                             ;   in Loop: Header=BB13_106 Depth=1
	s_wait_xcnt 0x0
	s_or_b32 exec_lo, exec_lo, s1
	s_delay_alu instid0(VALU_DEP_1)
	v_readfirstlane_b32 s1, v0
	s_cmp_eq_u32 s1, 0
	s_cbranch_scc1 .LBB13_105
; %bb.104:                              ;   in Loop: Header=BB13_106 Depth=1
	s_sleep 1
	s_cbranch_execnz .LBB13_106
	s_branch .LBB13_109
.LBB13_105:
	s_branch .LBB13_109
.LBB13_106:                             ; =>This Inner Loop Header: Depth=1
	v_mov_b32_e32 v0, 1
	s_and_saveexec_b32 s1, s0
	s_cbranch_execz .LBB13_103
; %bb.107:                              ;   in Loop: Header=BB13_106 Depth=1
	global_load_b32 v0, v[8:9], off offset:20 scope:SCOPE_SYS
	s_wait_loadcnt 0x0
	global_inv scope:SCOPE_SYS
	v_and_b32_e32 v0, 1, v0
	s_branch .LBB13_103
.LBB13_108:
	s_or_b32 exec_lo, exec_lo, s6
	s_wait_loadcnt 0x0
	s_wait_kmcnt 0x0
	s_set_pc_i64 s[30:31]
.LBB13_109:
	s_and_saveexec_b32 s7, s0
	s_cbranch_execz .LBB13_113
; %bb.110:
	v_mov_b32_e32 v6, 0
	s_clause 0x2
	global_load_b64 v[0:1], v6, s[2:3] offset:40
	global_load_b64 v[10:11], v6, s[2:3] offset:24 scope:SCOPE_SYS
	global_load_b64 v[2:3], v6, s[2:3]
	s_wait_loadcnt 0x2
	v_readfirstlane_b32 s8, v0
	v_readfirstlane_b32 s9, v1
	s_add_nc_u64 s[0:1], s[8:9], 1
	s_delay_alu instid0(SALU_CYCLE_1) | instskip(NEXT) | instid1(SALU_CYCLE_1)
	s_add_nc_u64 s[4:5], s[0:1], s[4:5]
	s_cmp_eq_u64 s[4:5], 0
	s_cselect_b32 s1, s1, s5
	s_cselect_b32 s0, s0, s4
	v_mov_b32_e32 v9, s1
	s_and_b64 s[4:5], s[0:1], s[8:9]
	v_mov_b32_e32 v8, s0
	s_mul_u64 s[4:5], s[4:5], 24
	s_wait_loadcnt 0x0
	v_add_nc_u64_e32 v[4:5], s[4:5], v[2:3]
	global_store_b64 v[4:5], v[10:11], off
	global_wb scope:SCOPE_SYS
	s_wait_storecnt 0x0
	s_wait_xcnt 0x0
	global_atomic_cmpswap_b64 v[2:3], v6, v[8:11], s[2:3] offset:24 th:TH_ATOMIC_RETURN scope:SCOPE_SYS
	s_wait_loadcnt 0x0
	v_cmp_ne_u64_e32 vcc_lo, v[2:3], v[10:11]
	s_and_b32 exec_lo, exec_lo, vcc_lo
	s_cbranch_execz .LBB13_113
; %bb.111:
	s_mov_b32 s4, 0
.LBB13_112:                             ; =>This Inner Loop Header: Depth=1
	v_dual_mov_b32 v0, s0 :: v_dual_mov_b32 v1, s1
	s_sleep 1
	global_store_b64 v[4:5], v[2:3], off
	global_wb scope:SCOPE_SYS
	s_wait_storecnt 0x0
	s_wait_xcnt 0x0
	global_atomic_cmpswap_b64 v[0:1], v6, v[0:3], s[2:3] offset:24 th:TH_ATOMIC_RETURN scope:SCOPE_SYS
	s_wait_loadcnt 0x0
	v_cmp_eq_u64_e32 vcc_lo, v[0:1], v[2:3]
	v_mov_b64_e32 v[2:3], v[0:1]
	s_or_b32 s4, vcc_lo, s4
	s_delay_alu instid0(SALU_CYCLE_1)
	s_and_not1_b32 exec_lo, exec_lo, s4
	s_cbranch_execnz .LBB13_112
.LBB13_113:
	s_or_b32 exec_lo, exec_lo, s7
	s_delay_alu instid0(SALU_CYCLE_1)
	s_or_b32 exec_lo, exec_lo, s6
	s_wait_loadcnt 0x0
	s_wait_kmcnt 0x0
	s_set_pc_i64 s[30:31]
.Lfunc_end13:
	.size	__ockl_fprintf_append_string_n, .Lfunc_end13-__ockl_fprintf_append_string_n
                                        ; -- End function
	.set .L__ockl_fprintf_append_string_n.num_vgpr, 38
	.set .L__ockl_fprintf_append_string_n.num_agpr, 0
	.set .L__ockl_fprintf_append_string_n.numbered_sgpr, 32
	.set .L__ockl_fprintf_append_string_n.num_named_barrier, 0
	.set .L__ockl_fprintf_append_string_n.private_seg_size, 0
	.set .L__ockl_fprintf_append_string_n.uses_vcc, 1
	.set .L__ockl_fprintf_append_string_n.uses_flat_scratch, 0
	.set .L__ockl_fprintf_append_string_n.has_dyn_sized_stack, 0
	.set .L__ockl_fprintf_append_string_n.has_recursion, 0
	.set .L__ockl_fprintf_append_string_n.has_indirect_call, 0
	.section	.AMDGPU.csdata,"",@progbits
; Function info:
; codeLenInByte = 4324
; TotalNumSgprs: 34
; NumVgprs: 38
; ScratchSize: 0
; MemoryBound: 0
	.text
	.p2align	2                               ; -- Begin function __assert_fail
	.type	__assert_fail,@function
__assert_fail:                          ; @__assert_fail
; %bb.0:
	s_wait_loadcnt_dscnt 0x0
	s_wait_kmcnt 0x0
	s_mov_b32 s20, s33
	s_mov_b32 s33, s32
	s_or_saveexec_b32 s0, -1
	scratch_store_b32 off, v40, s33 offset:48 ; 4-byte Folded Spill
	s_wait_xcnt 0x0
	s_mov_b32 exec_lo, s0
	v_writelane_b32 v40, s30, 0
	s_add_co_i32 s32, s32, 64
	v_writelane_b32 v40, s31, 1
	v_dual_mov_b32 v37, v4 :: v_dual_mov_b32 v36, v3
	v_mov_b32_e32 v3, 0
	s_get_pc_i64 s[0:1]
	s_add_nc_u64 s[0:1], s[0:1], __const.__assert_fail.fmt@rel64+35
	s_get_pc_i64 s[10:11]
	s_add_nc_u64 s[10:11], s[10:11], __const.__assert_fail.fmt@rel64+20
	v_mbcnt_lo_u32_b32 v52, -1, 0
	v_dual_mov_b32 v7, v1 :: v_dual_mov_b32 v6, v0
	global_load_b128 v[8:11], v3, s[0:1]
	s_wait_xcnt 0x0
	s_get_pc_i64 s[0:1]
	s_add_nc_u64 s[0:1], s[0:1], __const.__assert_fail.fmt@rel64+4
	s_clause 0x1
	s_load_b128 s[4:7], s[0:1], 0x0
	s_load_b128 s[12:15], s[10:11], 0x0
	s_load_b64 s[2:3], s[8:9], 0x50
	s_wait_xcnt 0x0
	v_readfirstlane_b32 s0, v52
	v_mov_b64_e32 v[0:1], 0
	s_delay_alu instid0(VALU_DEP_2)
	v_cmp_eq_u32_e64 s0, s0, v52
	s_wait_kmcnt 0x0
	v_mov_b64_e32 v[14:15], s[6:7]
	v_mov_b64_e32 v[12:13], s[4:5]
	;; [unrolled: 1-line block ×4, first 2 shown]
	s_clause 0x1
	scratch_store_b128 off, v[12:15], s33
	scratch_store_b128 off, v[16:19], s33 offset:16
	s_wait_loadcnt 0x0
	scratch_store_b128 off, v[8:11], s33 offset:31
	s_wait_xcnt 0x0
	s_and_saveexec_b32 s1, s0
	s_cbranch_execz .LBB14_6
; %bb.1:
	global_load_b64 v[10:11], v3, s[2:3] offset:24 scope:SCOPE_SYS
	s_wait_loadcnt 0x0
	global_inv scope:SCOPE_SYS
	s_clause 0x1
	global_load_b64 v[0:1], v3, s[2:3] offset:40
	global_load_b64 v[4:5], v3, s[2:3]
	s_mov_b32 s4, exec_lo
	s_wait_loadcnt 0x1
	v_and_b32_e32 v0, v0, v10
	v_and_b32_e32 v1, v1, v11
	s_delay_alu instid0(VALU_DEP_1) | instskip(SKIP_1) | instid1(VALU_DEP_1)
	v_mul_u64_e32 v[0:1], 24, v[0:1]
	s_wait_loadcnt 0x0
	v_add_nc_u64_e32 v[0:1], v[4:5], v[0:1]
	global_load_b64 v[8:9], v[0:1], off scope:SCOPE_SYS
	s_wait_xcnt 0x0
	s_wait_loadcnt 0x0
	global_atomic_cmpswap_b64 v[0:1], v3, v[8:11], s[2:3] offset:24 th:TH_ATOMIC_RETURN scope:SCOPE_SYS
	s_wait_loadcnt 0x0
	global_inv scope:SCOPE_SYS
	s_wait_xcnt 0x0
	v_cmpx_ne_u64_e64 v[0:1], v[10:11]
	s_cbranch_execz .LBB14_5
; %bb.2:
	v_mov_b32_e32 v4, 0
	s_mov_b32 s5, 0
.LBB14_3:                               ; =>This Inner Loop Header: Depth=1
	s_sleep 1
	s_clause 0x1
	global_load_b64 v[8:9], v4, s[2:3] offset:40
	global_load_b64 v[12:13], v4, s[2:3]
	v_mov_b64_e32 v[10:11], v[0:1]
	s_wait_loadcnt 0x1
	s_delay_alu instid0(VALU_DEP_1) | instskip(NEXT) | instid1(VALU_DEP_2)
	v_and_b32_e32 v0, v8, v10
	v_and_b32_e32 v5, v9, v11
	s_wait_loadcnt 0x0
	s_delay_alu instid0(VALU_DEP_2) | instskip(NEXT) | instid1(VALU_DEP_1)
	v_mad_nc_u64_u32 v[0:1], v0, 24, v[12:13]
	v_mad_u32 v1, v5, 24, v1
	global_load_b64 v[8:9], v[0:1], off scope:SCOPE_SYS
	s_wait_xcnt 0x0
	s_wait_loadcnt 0x0
	global_atomic_cmpswap_b64 v[0:1], v4, v[8:11], s[2:3] offset:24 th:TH_ATOMIC_RETURN scope:SCOPE_SYS
	s_wait_loadcnt 0x0
	global_inv scope:SCOPE_SYS
	v_cmp_eq_u64_e32 vcc_lo, v[0:1], v[10:11]
	s_or_b32 s5, vcc_lo, s5
	s_wait_xcnt 0x0
	s_and_not1_b32 exec_lo, exec_lo, s5
	s_cbranch_execnz .LBB14_3
; %bb.4:
	s_or_b32 exec_lo, exec_lo, s5
.LBB14_5:
	s_delay_alu instid0(SALU_CYCLE_1)
	s_or_b32 exec_lo, exec_lo, s4
.LBB14_6:
	s_delay_alu instid0(SALU_CYCLE_1)
	s_or_b32 exec_lo, exec_lo, s1
	s_clause 0x1
	global_load_b64 v[4:5], v3, s[2:3] offset:40
	global_load_b128 v[8:11], v3, s[2:3]
	v_readfirstlane_b32 s4, v0
	v_readfirstlane_b32 s5, v1
	s_mov_b32 s1, exec_lo
	s_wait_loadcnt 0x1
	v_and_b32_e32 v4, s4, v4
	v_and_b32_e32 v5, s5, v5
	s_delay_alu instid0(VALU_DEP_1) | instskip(SKIP_1) | instid1(VALU_DEP_1)
	v_mul_u64_e32 v[0:1], 24, v[4:5]
	s_wait_loadcnt 0x0
	v_add_nc_u64_e32 v[0:1], v[8:9], v[0:1]
	s_wait_xcnt 0x0
	s_and_saveexec_b32 s6, s0
	s_cbranch_execz .LBB14_8
; %bb.7:
	v_mov_b64_e32 v[14:15], 0x100000002
	v_dual_mov_b32 v12, s1 :: v_dual_mov_b32 v13, 0
	global_store_b128 v[0:1], v[12:15], off offset:8
.LBB14_8:
	s_wait_xcnt 0x0
	s_or_b32 exec_lo, exec_lo, s6
	v_lshlrev_b64_e32 v[4:5], 12, v[4:5]
	s_mov_b32 s12, 0
	v_dual_mov_b32 v35, 0 :: v_dual_lshlrev_b32 v34, 6, v52
	s_mov_b32 s14, s12
	s_mov_b32 s15, s12
	s_mov_b32 s13, s12
	s_delay_alu instid0(VALU_DEP_2)
	v_add_nc_u64_e32 v[4:5], v[10:11], v[4:5]
	v_mov_b64_e32 v[18:19], s[14:15]
	v_mov_b64_e32 v[16:17], s[12:13]
	v_dual_mov_b32 v12, 33 :: v_dual_mov_b32 v14, 1
	v_dual_mov_b32 v13, v35 :: v_dual_mov_b32 v15, v35
	v_readfirstlane_b32 s6, v4
	v_readfirstlane_b32 s7, v5
	s_clause 0x3
	global_store_b128 v34, v[12:15], s[6:7]
	global_store_b128 v34, v[16:19], s[6:7] offset:16
	global_store_b128 v34, v[16:19], s[6:7] offset:32
	;; [unrolled: 1-line block ×3, first 2 shown]
	s_wait_xcnt 0x0
	s_and_saveexec_b32 s1, s0
	s_cbranch_execz .LBB14_16
; %bb.9:
	s_clause 0x1
	global_load_b64 v[16:17], v35, s[2:3] offset:32 scope:SCOPE_SYS
	global_load_b64 v[10:11], v35, s[2:3] offset:40
	s_mov_b32 s6, exec_lo
	v_dual_mov_b32 v14, s4 :: v_dual_mov_b32 v15, s5
	s_wait_loadcnt 0x0
	v_and_b32_e32 v11, s5, v11
	v_and_b32_e32 v10, s4, v10
	s_delay_alu instid0(VALU_DEP_1) | instskip(NEXT) | instid1(VALU_DEP_1)
	v_mul_u64_e32 v[10:11], 24, v[10:11]
	v_add_nc_u64_e32 v[12:13], v[8:9], v[10:11]
	global_store_b64 v[12:13], v[16:17], off
	global_wb scope:SCOPE_SYS
	s_wait_storecnt 0x0
	s_wait_xcnt 0x0
	global_atomic_cmpswap_b64 v[10:11], v35, v[14:17], s[2:3] offset:32 th:TH_ATOMIC_RETURN scope:SCOPE_SYS
	s_wait_loadcnt 0x0
	v_cmpx_ne_u64_e64 v[10:11], v[16:17]
	s_cbranch_execz .LBB14_12
; %bb.10:
	v_mov_b32_e32 v3, 0
	s_mov_b32 s7, 0
.LBB14_11:                              ; =>This Inner Loop Header: Depth=1
	v_dual_mov_b32 v8, s4 :: v_dual_mov_b32 v9, s5
	s_sleep 1
	global_store_b64 v[12:13], v[10:11], off
	global_wb scope:SCOPE_SYS
	s_wait_storecnt 0x0
	s_wait_xcnt 0x0
	global_atomic_cmpswap_b64 v[8:9], v3, v[8:11], s[2:3] offset:32 th:TH_ATOMIC_RETURN scope:SCOPE_SYS
	s_wait_loadcnt 0x0
	v_cmp_eq_u64_e32 vcc_lo, v[8:9], v[10:11]
	v_mov_b64_e32 v[10:11], v[8:9]
	s_or_b32 s7, vcc_lo, s7
	s_delay_alu instid0(SALU_CYCLE_1)
	s_and_not1_b32 exec_lo, exec_lo, s7
	s_cbranch_execnz .LBB14_11
.LBB14_12:
	s_or_b32 exec_lo, exec_lo, s6
	v_mov_b32_e32 v11, 0
	s_mov_b32 s7, exec_lo
	s_mov_b32 s6, exec_lo
	v_mbcnt_lo_u32_b32 v3, s7, 0
	global_load_b64 v[8:9], v11, s[2:3] offset:16
	s_wait_xcnt 0x0
	v_cmpx_eq_u32_e32 0, v3
	s_cbranch_execz .LBB14_14
; %bb.13:
	s_bcnt1_i32_b32 s7, s7
	s_delay_alu instid0(SALU_CYCLE_1)
	v_mov_b32_e32 v10, s7
	global_wb scope:SCOPE_SYS
	s_wait_loadcnt 0x0
	s_wait_storecnt 0x0
	global_atomic_add_u64 v[8:9], v[10:11], off offset:8 scope:SCOPE_SYS
.LBB14_14:
	s_wait_xcnt 0x0
	s_or_b32 exec_lo, exec_lo, s6
	s_wait_loadcnt 0x0
	global_load_b64 v[10:11], v[8:9], off offset:16
	s_wait_loadcnt 0x0
	v_cmp_eq_u64_e32 vcc_lo, 0, v[10:11]
	s_cbranch_vccnz .LBB14_16
; %bb.15:
	global_load_b32 v8, v[8:9], off offset:24
	s_wait_xcnt 0x0
	v_mov_b32_e32 v9, 0
	s_wait_loadcnt 0x0
	v_readfirstlane_b32 s6, v8
	global_wb scope:SCOPE_SYS
	s_wait_storecnt 0x0
	global_store_b64 v[10:11], v[8:9], off scope:SCOPE_SYS
	s_and_b32 m0, s6, 0xffffff
	s_sendmsg sendmsg(MSG_INTERRUPT)
.LBB14_16:
	s_wait_xcnt 0x0
	s_or_b32 exec_lo, exec_lo, s1
	v_add_nc_u64_e32 v[4:5], v[4:5], v[34:35]
	s_branch .LBB14_20
.LBB14_17:                              ;   in Loop: Header=BB14_20 Depth=1
	s_wait_xcnt 0x0
	s_or_b32 exec_lo, exec_lo, s1
	s_delay_alu instid0(VALU_DEP_1)
	v_readfirstlane_b32 s1, v3
	s_cmp_eq_u32 s1, 0
	s_cbranch_scc1 .LBB14_19
; %bb.18:                               ;   in Loop: Header=BB14_20 Depth=1
	s_sleep 1
	s_cbranch_execnz .LBB14_20
	s_branch .LBB14_22
.LBB14_19:
	s_branch .LBB14_22
.LBB14_20:                              ; =>This Inner Loop Header: Depth=1
	v_mov_b32_e32 v3, 1
	s_and_saveexec_b32 s1, s0
	s_cbranch_execz .LBB14_17
; %bb.21:                               ;   in Loop: Header=BB14_20 Depth=1
	global_load_b32 v3, v[0:1], off offset:20 scope:SCOPE_SYS
	s_wait_loadcnt 0x0
	global_inv scope:SCOPE_SYS
	v_and_b32_e32 v3, 1, v3
	s_branch .LBB14_17
.LBB14_22:
	global_load_b64 v[12:13], v[4:5], off
	s_wait_xcnt 0x0
	s_and_saveexec_b32 s6, s0
	s_cbranch_execz .LBB14_26
; %bb.23:
	v_mov_b32_e32 v3, 0
	s_clause 0x2
	global_load_b64 v[0:1], v3, s[2:3] offset:40
	global_load_b64 v[16:17], v3, s[2:3] offset:24 scope:SCOPE_SYS
	global_load_b64 v[4:5], v3, s[2:3]
	s_wait_loadcnt 0x2
	v_readfirstlane_b32 s10, v0
	v_readfirstlane_b32 s11, v1
	s_add_nc_u64 s[0:1], s[10:11], 1
	s_delay_alu instid0(SALU_CYCLE_1) | instskip(NEXT) | instid1(SALU_CYCLE_1)
	s_add_nc_u64 s[4:5], s[0:1], s[4:5]
	s_cmp_eq_u64 s[4:5], 0
	s_cselect_b32 s1, s1, s5
	s_cselect_b32 s0, s0, s4
	v_mov_b32_e32 v15, s1
	s_and_b64 s[4:5], s[0:1], s[10:11]
	v_mov_b32_e32 v14, s0
	s_mul_u64 s[4:5], s[4:5], 24
	s_wait_loadcnt 0x0
	v_add_nc_u64_e32 v[0:1], s[4:5], v[4:5]
	global_store_b64 v[0:1], v[16:17], off
	global_wb scope:SCOPE_SYS
	s_wait_storecnt 0x0
	s_wait_xcnt 0x0
	global_atomic_cmpswap_b64 v[10:11], v3, v[14:17], s[2:3] offset:24 th:TH_ATOMIC_RETURN scope:SCOPE_SYS
	s_wait_loadcnt 0x0
	v_cmp_ne_u64_e32 vcc_lo, v[10:11], v[16:17]
	s_and_b32 exec_lo, exec_lo, vcc_lo
	s_cbranch_execz .LBB14_26
; %bb.24:
	s_mov_b32 s4, 0
.LBB14_25:                              ; =>This Inner Loop Header: Depth=1
	v_dual_mov_b32 v8, s0 :: v_dual_mov_b32 v9, s1
	s_sleep 1
	global_store_b64 v[0:1], v[10:11], off
	global_wb scope:SCOPE_SYS
	s_wait_storecnt 0x0
	s_wait_xcnt 0x0
	global_atomic_cmpswap_b64 v[4:5], v3, v[8:11], s[2:3] offset:24 th:TH_ATOMIC_RETURN scope:SCOPE_SYS
	s_wait_loadcnt 0x0
	v_cmp_eq_u64_e32 vcc_lo, v[4:5], v[10:11]
	v_mov_b64_e32 v[10:11], v[4:5]
	s_or_b32 s4, vcc_lo, s4
	s_delay_alu instid0(SALU_CYCLE_1)
	s_and_not1_b32 exec_lo, exec_lo, s4
	s_cbranch_execnz .LBB14_25
.LBB14_26:
	s_or_b32 exec_lo, exec_lo, s6
	s_mov_b32 s1, s33
	s_mov_b32 s0, 0
.LBB14_27:                              ; =>This Inner Loop Header: Depth=1
	scratch_load_u8 v0, off, s1
	s_wait_xcnt 0x0
	s_add_co_i32 s1, s1, 1
	s_wait_loadcnt 0x0
	v_cmp_eq_u16_e32 vcc_lo, 0, v0
	v_mov_b32_e32 v0, s1
	s_or_b32 s0, vcc_lo, s0
	s_delay_alu instid0(SALU_CYCLE_1)
	s_and_not1_b32 exec_lo, exec_lo, s0
	s_cbranch_execnz .LBB14_27
; %bb.28:
	s_or_b32 exec_lo, exec_lo, s0
	s_cmp_lg_u32 s33, -1
	s_cbranch_scc0 .LBB14_113
; %bb.29:
	s_mov_b64 s[0:1], src_flat_scratch_base_lo
	v_mov_b64_e32 v[16:17], 0x100000002
	v_dual_add_nc_u32 v1, s0, v0 :: v_dual_mov_b32 v35, 0
	s_add_co_i32 s0, s33, s0
	v_dual_mov_b32 v9, v13 :: v_dual_bitop2_b32 v0, 2, v12 bitop3:0x40
	s_delay_alu instid0(VALU_DEP_2) | instskip(SKIP_3) | instid1(VALU_DEP_2)
	v_subrev_nc_u32_e32 v4, s0, v1
	v_dual_mov_b32 v1, s33 :: v_dual_bitop2_b32 v8, -3, v12 bitop3:0x40
	s_mov_b32 s7, 0
	s_mov_b32 s6, 0
	v_ashrrev_i32_e32 v5, 31, v4
	s_branch .LBB14_31
.LBB14_30:                              ;   in Loop: Header=BB14_31 Depth=1
	s_or_b32 exec_lo, exec_lo, s10
	v_sub_nc_u64_e32 v[4:5], v[4:5], v[38:39]
	v_add_nc_u32_e32 v1, v1, v38
	s_delay_alu instid0(VALU_DEP_2) | instskip(SKIP_1) | instid1(SALU_CYCLE_1)
	v_cmp_eq_u64_e32 vcc_lo, 0, v[4:5]
	s_or_b32 s6, vcc_lo, s6
	s_and_not1_b32 exec_lo, exec_lo, s6
	s_cbranch_execz .LBB14_192
.LBB14_31:                              ; =>This Loop Header: Depth=1
                                        ;     Child Loop BB14_34 Depth 2
                                        ;     Child Loop BB14_42 Depth 2
	;; [unrolled: 1-line block ×11, first 2 shown]
	s_delay_alu instid0(VALU_DEP_1)
	v_min_u64 v[38:39], v[4:5], 56
	v_add_nc_u32_e32 v14, 8, v1
	s_mov_b32 s0, exec_lo
	v_cmpx_gt_u64_e32 8, v[4:5]
	s_xor_b32 s4, exec_lo, s0
	s_cbranch_execz .LBB14_37
; %bb.32:                               ;   in Loop: Header=BB14_31 Depth=1
	v_mov_b64_e32 v[10:11], 0
	s_mov_b32 s5, exec_lo
	v_cmpx_ne_u64_e32 0, v[4:5]
	s_cbranch_execz .LBB14_36
; %bb.33:                               ;   in Loop: Header=BB14_31 Depth=1
	v_mov_b64_e32 v[10:11], 0
	v_dual_mov_b32 v3, v1 :: v_dual_lshlrev_b32 v14, 3, v38
	s_mov_b64 s[0:1], 0
	s_mov_b32 s10, 0
.LBB14_34:                              ;   Parent Loop BB14_31 Depth=1
                                        ; =>  This Inner Loop Header: Depth=2
	scratch_load_u8 v15, v3, off
	s_wait_xcnt 0x0
	v_dual_mov_b32 v19, s7 :: v_dual_add_nc_u32 v3, 1, v3
	s_wait_loadcnt 0x0
	v_and_b32_e32 v18, 0xffff, v15
	s_delay_alu instid0(VALU_DEP_1) | instskip(SKIP_1) | instid1(SALU_CYCLE_1)
	v_lshlrev_b64_e32 v[18:19], s0, v[18:19]
	s_add_nc_u64 s[0:1], s[0:1], 8
	v_cmp_eq_u32_e32 vcc_lo, s0, v14
	s_delay_alu instid0(VALU_DEP_2) | instskip(NEXT) | instid1(VALU_DEP_3)
	v_or_b32_e32 v11, v19, v11
	v_or_b32_e32 v10, v18, v10
	s_or_b32 s10, vcc_lo, s10
	s_delay_alu instid0(SALU_CYCLE_1)
	s_and_not1_b32 exec_lo, exec_lo, s10
	s_cbranch_execnz .LBB14_34
; %bb.35:                               ;   in Loop: Header=BB14_31 Depth=1
	s_or_b32 exec_lo, exec_lo, s10
.LBB14_36:                              ;   in Loop: Header=BB14_31 Depth=1
	s_delay_alu instid0(SALU_CYCLE_1)
	s_or_b32 exec_lo, exec_lo, s5
	v_mov_b32_e32 v14, v1
.LBB14_37:                              ;   in Loop: Header=BB14_31 Depth=1
	s_or_saveexec_b32 s0, s4
	v_mov_b32_e32 v15, 0
	s_xor_b32 exec_lo, exec_lo, s0
	s_cbranch_execz .LBB14_39
; %bb.38:                               ;   in Loop: Header=BB14_31 Depth=1
	scratch_load_b64 v[10:11], v1, off
	v_add_nc_u32_e32 v15, -8, v38
.LBB14_39:                              ;   in Loop: Header=BB14_31 Depth=1
	s_wait_xcnt 0x0
	s_or_b32 exec_lo, exec_lo, s0
	v_add_nc_u32_e32 v3, 8, v14
                                        ; implicit-def: $vgpr18_vgpr19
	s_mov_b32 s0, exec_lo
	v_cmpx_gt_u32_e32 8, v15
	s_xor_b32 s4, exec_lo, s0
	s_cbranch_execz .LBB14_45
; %bb.40:                               ;   in Loop: Header=BB14_31 Depth=1
	v_mov_b64_e32 v[18:19], 0
	s_mov_b32 s5, exec_lo
	v_cmpx_ne_u32_e32 0, v15
	s_cbranch_execz .LBB14_44
; %bb.41:                               ;   in Loop: Header=BB14_31 Depth=1
	v_mov_b64_e32 v[18:19], 0
	s_mov_b64 s[0:1], 0
	s_mov_b32 s10, 0
	s_mov_b32 s11, 0
.LBB14_42:                              ;   Parent Loop BB14_31 Depth=1
                                        ; =>  This Inner Loop Header: Depth=2
	scratch_load_u8 v3, v14, s11
	v_mov_b32_e32 v21, s7
	s_wait_xcnt 0x0
	s_add_co_i32 s11, s11, 1
	s_delay_alu instid0(SALU_CYCLE_1) | instskip(SKIP_3) | instid1(VALU_DEP_1)
	v_cmp_eq_u32_e32 vcc_lo, s11, v15
	s_or_b32 s10, vcc_lo, s10
	s_wait_loadcnt 0x0
	v_and_b32_e32 v20, 0xffff, v3
	v_lshlrev_b64_e32 v[20:21], s0, v[20:21]
	s_add_nc_u64 s[0:1], s[0:1], 8
	s_delay_alu instid0(VALU_DEP_1) | instskip(NEXT) | instid1(VALU_DEP_2)
	v_or_b32_e32 v19, v21, v19
	v_or_b32_e32 v18, v20, v18
	s_and_not1_b32 exec_lo, exec_lo, s10
	s_cbranch_execnz .LBB14_42
; %bb.43:                               ;   in Loop: Header=BB14_31 Depth=1
	s_or_b32 exec_lo, exec_lo, s10
.LBB14_44:                              ;   in Loop: Header=BB14_31 Depth=1
	s_delay_alu instid0(SALU_CYCLE_1)
	s_or_b32 exec_lo, exec_lo, s5
	v_mov_b32_e32 v3, v14
                                        ; implicit-def: $vgpr15
.LBB14_45:                              ;   in Loop: Header=BB14_31 Depth=1
	s_or_saveexec_b32 s0, s4
	v_mov_b32_e32 v22, 0
	s_xor_b32 exec_lo, exec_lo, s0
	s_cbranch_execz .LBB14_47
; %bb.46:                               ;   in Loop: Header=BB14_31 Depth=1
	scratch_load_b64 v[18:19], v14, off
	v_add_nc_u32_e32 v22, -8, v15
.LBB14_47:                              ;   in Loop: Header=BB14_31 Depth=1
	s_wait_xcnt 0x0
	s_or_b32 exec_lo, exec_lo, s0
	v_add_nc_u32_e32 v14, 8, v3
	s_mov_b32 s0, exec_lo
	v_cmpx_gt_u32_e32 8, v22
	s_xor_b32 s4, exec_lo, s0
	s_cbranch_execz .LBB14_53
; %bb.48:                               ;   in Loop: Header=BB14_31 Depth=1
	v_mov_b64_e32 v[20:21], 0
	s_mov_b32 s5, exec_lo
	v_cmpx_ne_u32_e32 0, v22
	s_cbranch_execz .LBB14_52
; %bb.49:                               ;   in Loop: Header=BB14_31 Depth=1
	v_mov_b64_e32 v[20:21], 0
	s_mov_b64 s[0:1], 0
	s_mov_b32 s10, 0
	s_mov_b32 s11, 0
.LBB14_50:                              ;   Parent Loop BB14_31 Depth=1
                                        ; =>  This Inner Loop Header: Depth=2
	scratch_load_u8 v14, v3, s11
	v_mov_b32_e32 v15, s7
	s_wait_xcnt 0x0
	s_add_co_i32 s11, s11, 1
	s_delay_alu instid0(SALU_CYCLE_1) | instskip(SKIP_3) | instid1(VALU_DEP_1)
	v_cmp_eq_u32_e32 vcc_lo, s11, v22
	s_or_b32 s10, vcc_lo, s10
	s_wait_loadcnt 0x0
	v_and_b32_e32 v14, 0xffff, v14
	v_lshlrev_b64_e32 v[14:15], s0, v[14:15]
	s_add_nc_u64 s[0:1], s[0:1], 8
	s_delay_alu instid0(VALU_DEP_1) | instskip(NEXT) | instid1(VALU_DEP_2)
	v_or_b32_e32 v21, v15, v21
	v_or_b32_e32 v20, v14, v20
	s_and_not1_b32 exec_lo, exec_lo, s10
	s_cbranch_execnz .LBB14_50
; %bb.51:                               ;   in Loop: Header=BB14_31 Depth=1
	s_or_b32 exec_lo, exec_lo, s10
.LBB14_52:                              ;   in Loop: Header=BB14_31 Depth=1
	s_delay_alu instid0(SALU_CYCLE_1)
	s_or_b32 exec_lo, exec_lo, s5
	v_mov_b32_e32 v14, v3
                                        ; implicit-def: $vgpr22
.LBB14_53:                              ;   in Loop: Header=BB14_31 Depth=1
	s_or_saveexec_b32 s0, s4
	v_mov_b32_e32 v15, 0
	s_xor_b32 exec_lo, exec_lo, s0
	s_cbranch_execz .LBB14_55
; %bb.54:                               ;   in Loop: Header=BB14_31 Depth=1
	scratch_load_b64 v[20:21], v3, off
	v_add_nc_u32_e32 v15, -8, v22
.LBB14_55:                              ;   in Loop: Header=BB14_31 Depth=1
	s_wait_xcnt 0x0
	s_or_b32 exec_lo, exec_lo, s0
	v_add_nc_u32_e32 v3, 8, v14
                                        ; implicit-def: $vgpr22_vgpr23
	s_mov_b32 s0, exec_lo
	v_cmpx_gt_u32_e32 8, v15
	s_xor_b32 s4, exec_lo, s0
	s_cbranch_execz .LBB14_61
; %bb.56:                               ;   in Loop: Header=BB14_31 Depth=1
	v_mov_b64_e32 v[22:23], 0
	s_mov_b32 s5, exec_lo
	v_cmpx_ne_u32_e32 0, v15
	s_cbranch_execz .LBB14_60
; %bb.57:                               ;   in Loop: Header=BB14_31 Depth=1
	v_mov_b64_e32 v[22:23], 0
	s_mov_b64 s[0:1], 0
	s_mov_b32 s10, 0
	s_mov_b32 s11, 0
.LBB14_58:                              ;   Parent Loop BB14_31 Depth=1
                                        ; =>  This Inner Loop Header: Depth=2
	scratch_load_u8 v3, v14, s11
	v_mov_b32_e32 v25, s7
	s_wait_xcnt 0x0
	s_add_co_i32 s11, s11, 1
	s_delay_alu instid0(SALU_CYCLE_1) | instskip(SKIP_3) | instid1(VALU_DEP_1)
	v_cmp_eq_u32_e32 vcc_lo, s11, v15
	s_or_b32 s10, vcc_lo, s10
	s_wait_loadcnt 0x0
	v_and_b32_e32 v24, 0xffff, v3
	v_lshlrev_b64_e32 v[24:25], s0, v[24:25]
	s_add_nc_u64 s[0:1], s[0:1], 8
	s_delay_alu instid0(VALU_DEP_1) | instskip(NEXT) | instid1(VALU_DEP_2)
	v_or_b32_e32 v23, v25, v23
	v_or_b32_e32 v22, v24, v22
	s_and_not1_b32 exec_lo, exec_lo, s10
	s_cbranch_execnz .LBB14_58
; %bb.59:                               ;   in Loop: Header=BB14_31 Depth=1
	s_or_b32 exec_lo, exec_lo, s10
.LBB14_60:                              ;   in Loop: Header=BB14_31 Depth=1
	s_delay_alu instid0(SALU_CYCLE_1)
	s_or_b32 exec_lo, exec_lo, s5
	v_mov_b32_e32 v3, v14
                                        ; implicit-def: $vgpr15
.LBB14_61:                              ;   in Loop: Header=BB14_31 Depth=1
	s_or_saveexec_b32 s0, s4
	v_mov_b32_e32 v26, 0
	s_xor_b32 exec_lo, exec_lo, s0
	s_cbranch_execz .LBB14_63
; %bb.62:                               ;   in Loop: Header=BB14_31 Depth=1
	scratch_load_b64 v[22:23], v14, off
	v_add_nc_u32_e32 v26, -8, v15
.LBB14_63:                              ;   in Loop: Header=BB14_31 Depth=1
	s_wait_xcnt 0x0
	s_or_b32 exec_lo, exec_lo, s0
	v_add_nc_u32_e32 v14, 8, v3
	s_mov_b32 s0, exec_lo
	v_cmpx_gt_u32_e32 8, v26
	s_xor_b32 s4, exec_lo, s0
	s_cbranch_execz .LBB14_69
; %bb.64:                               ;   in Loop: Header=BB14_31 Depth=1
	v_mov_b64_e32 v[24:25], 0
	s_mov_b32 s5, exec_lo
	v_cmpx_ne_u32_e32 0, v26
	s_cbranch_execz .LBB14_68
; %bb.65:                               ;   in Loop: Header=BB14_31 Depth=1
	v_mov_b64_e32 v[24:25], 0
	s_mov_b64 s[0:1], 0
	s_mov_b32 s10, 0
	s_mov_b32 s11, 0
.LBB14_66:                              ;   Parent Loop BB14_31 Depth=1
                                        ; =>  This Inner Loop Header: Depth=2
	scratch_load_u8 v14, v3, s11
	v_mov_b32_e32 v15, s7
	s_wait_xcnt 0x0
	s_add_co_i32 s11, s11, 1
	s_delay_alu instid0(SALU_CYCLE_1) | instskip(SKIP_3) | instid1(VALU_DEP_1)
	v_cmp_eq_u32_e32 vcc_lo, s11, v26
	s_or_b32 s10, vcc_lo, s10
	s_wait_loadcnt 0x0
	v_and_b32_e32 v14, 0xffff, v14
	v_lshlrev_b64_e32 v[14:15], s0, v[14:15]
	s_add_nc_u64 s[0:1], s[0:1], 8
	s_delay_alu instid0(VALU_DEP_1) | instskip(NEXT) | instid1(VALU_DEP_2)
	v_or_b32_e32 v25, v15, v25
	v_or_b32_e32 v24, v14, v24
	s_and_not1_b32 exec_lo, exec_lo, s10
	s_cbranch_execnz .LBB14_66
; %bb.67:                               ;   in Loop: Header=BB14_31 Depth=1
	s_or_b32 exec_lo, exec_lo, s10
.LBB14_68:                              ;   in Loop: Header=BB14_31 Depth=1
	s_delay_alu instid0(SALU_CYCLE_1)
	s_or_b32 exec_lo, exec_lo, s5
	v_mov_b32_e32 v14, v3
                                        ; implicit-def: $vgpr26
.LBB14_69:                              ;   in Loop: Header=BB14_31 Depth=1
	s_or_saveexec_b32 s0, s4
	v_mov_b32_e32 v15, 0
	s_xor_b32 exec_lo, exec_lo, s0
	s_cbranch_execz .LBB14_71
; %bb.70:                               ;   in Loop: Header=BB14_31 Depth=1
	scratch_load_b64 v[24:25], v3, off
	v_add_nc_u32_e32 v15, -8, v26
.LBB14_71:                              ;   in Loop: Header=BB14_31 Depth=1
	s_wait_xcnt 0x0
	s_or_b32 exec_lo, exec_lo, s0
	v_add_nc_u32_e32 v3, 8, v14
                                        ; implicit-def: $vgpr26_vgpr27
	s_mov_b32 s0, exec_lo
	v_cmpx_gt_u32_e32 8, v15
	s_xor_b32 s4, exec_lo, s0
	s_cbranch_execz .LBB14_77
; %bb.72:                               ;   in Loop: Header=BB14_31 Depth=1
	v_mov_b64_e32 v[26:27], 0
	s_mov_b32 s5, exec_lo
	v_cmpx_ne_u32_e32 0, v15
	s_cbranch_execz .LBB14_76
; %bb.73:                               ;   in Loop: Header=BB14_31 Depth=1
	v_mov_b64_e32 v[26:27], 0
	s_mov_b64 s[0:1], 0
	s_mov_b32 s10, 0
	s_mov_b32 s11, 0
.LBB14_74:                              ;   Parent Loop BB14_31 Depth=1
                                        ; =>  This Inner Loop Header: Depth=2
	scratch_load_u8 v3, v14, s11
	v_mov_b32_e32 v29, s7
	s_wait_xcnt 0x0
	s_add_co_i32 s11, s11, 1
	s_delay_alu instid0(SALU_CYCLE_1) | instskip(SKIP_3) | instid1(VALU_DEP_1)
	v_cmp_eq_u32_e32 vcc_lo, s11, v15
	s_or_b32 s10, vcc_lo, s10
	s_wait_loadcnt 0x0
	v_and_b32_e32 v28, 0xffff, v3
	v_lshlrev_b64_e32 v[28:29], s0, v[28:29]
	s_add_nc_u64 s[0:1], s[0:1], 8
	s_delay_alu instid0(VALU_DEP_1) | instskip(NEXT) | instid1(VALU_DEP_2)
	v_or_b32_e32 v27, v29, v27
	v_or_b32_e32 v26, v28, v26
	s_and_not1_b32 exec_lo, exec_lo, s10
	s_cbranch_execnz .LBB14_74
; %bb.75:                               ;   in Loop: Header=BB14_31 Depth=1
	s_or_b32 exec_lo, exec_lo, s10
.LBB14_76:                              ;   in Loop: Header=BB14_31 Depth=1
	s_delay_alu instid0(SALU_CYCLE_1)
	s_or_b32 exec_lo, exec_lo, s5
	v_mov_b32_e32 v3, v14
                                        ; implicit-def: $vgpr15
.LBB14_77:                              ;   in Loop: Header=BB14_31 Depth=1
	s_or_saveexec_b32 s0, s4
	v_mov_b32_e32 v30, 0
	s_xor_b32 exec_lo, exec_lo, s0
	s_cbranch_execz .LBB14_79
; %bb.78:                               ;   in Loop: Header=BB14_31 Depth=1
	scratch_load_b64 v[26:27], v14, off
	v_add_nc_u32_e32 v30, -8, v15
.LBB14_79:                              ;   in Loop: Header=BB14_31 Depth=1
	s_wait_xcnt 0x0
	s_or_b32 exec_lo, exec_lo, s0
	s_delay_alu instid0(SALU_CYCLE_1) | instskip(NEXT) | instid1(VALU_DEP_1)
	s_mov_b32 s0, exec_lo
	v_cmpx_gt_u32_e32 8, v30
	s_xor_b32 s4, exec_lo, s0
	s_cbranch_execz .LBB14_85
; %bb.80:                               ;   in Loop: Header=BB14_31 Depth=1
	v_mov_b64_e32 v[28:29], 0
	s_mov_b32 s5, exec_lo
	v_cmpx_ne_u32_e32 0, v30
	s_cbranch_execz .LBB14_84
; %bb.81:                               ;   in Loop: Header=BB14_31 Depth=1
	v_mov_b64_e32 v[28:29], 0
	s_mov_b64 s[0:1], 0
	s_mov_b32 s10, 0
.LBB14_82:                              ;   Parent Loop BB14_31 Depth=1
                                        ; =>  This Inner Loop Header: Depth=2
	scratch_load_u8 v14, v3, off
	v_dual_mov_b32 v15, s7 :: v_dual_add_nc_u32 v30, -1, v30
	s_delay_alu instid0(VALU_DEP_1) | instskip(SKIP_3) | instid1(VALU_DEP_1)
	v_cmp_eq_u32_e32 vcc_lo, 0, v30
	s_or_b32 s10, vcc_lo, s10
	s_wait_loadcnt 0x0
	v_and_b32_e32 v14, 0xffff, v14
	v_lshlrev_b64_e32 v[14:15], s0, v[14:15]
	s_wait_xcnt 0x0
	v_add_nc_u32_e32 v3, 1, v3
	s_add_nc_u64 s[0:1], s[0:1], 8
	s_delay_alu instid0(VALU_DEP_2) | instskip(NEXT) | instid1(VALU_DEP_3)
	v_or_b32_e32 v29, v15, v29
	v_or_b32_e32 v28, v14, v28
	s_and_not1_b32 exec_lo, exec_lo, s10
	s_cbranch_execnz .LBB14_82
; %bb.83:                               ;   in Loop: Header=BB14_31 Depth=1
	s_or_b32 exec_lo, exec_lo, s10
.LBB14_84:                              ;   in Loop: Header=BB14_31 Depth=1
	s_delay_alu instid0(SALU_CYCLE_1)
	s_or_b32 exec_lo, exec_lo, s5
                                        ; implicit-def: $vgpr3
.LBB14_85:                              ;   in Loop: Header=BB14_31 Depth=1
	s_and_not1_saveexec_b32 s0, s4
	s_cbranch_execz .LBB14_87
; %bb.86:                               ;   in Loop: Header=BB14_31 Depth=1
	scratch_load_b64 v[28:29], v3, off
.LBB14_87:                              ;   in Loop: Header=BB14_31 Depth=1
	s_wait_xcnt 0x0
	s_or_b32 exec_lo, exec_lo, s0
	v_readfirstlane_b32 s0, v52
	v_mov_b64_e32 v[14:15], 0
	s_delay_alu instid0(VALU_DEP_2)
	v_cmp_eq_u32_e64 s0, s0, v52
	s_and_saveexec_b32 s1, s0
	s_cbranch_execz .LBB14_93
; %bb.88:                               ;   in Loop: Header=BB14_31 Depth=1
	global_load_b64 v[32:33], v35, s[2:3] offset:24 scope:SCOPE_SYS
	s_wait_loadcnt 0x0
	global_inv scope:SCOPE_SYS
	s_clause 0x1
	global_load_b64 v[14:15], v35, s[2:3] offset:40
	global_load_b64 v[30:31], v35, s[2:3]
	s_mov_b32 s4, exec_lo
	s_wait_loadcnt 0x1
	v_and_b32_e32 v14, v14, v32
	v_and_b32_e32 v15, v15, v33
	s_delay_alu instid0(VALU_DEP_1) | instskip(SKIP_1) | instid1(VALU_DEP_1)
	v_mul_u64_e32 v[14:15], 24, v[14:15]
	s_wait_loadcnt 0x0
	v_add_nc_u64_e32 v[14:15], v[30:31], v[14:15]
	global_load_b64 v[30:31], v[14:15], off scope:SCOPE_SYS
	s_wait_xcnt 0x0
	s_wait_loadcnt 0x0
	global_atomic_cmpswap_b64 v[14:15], v35, v[30:33], s[2:3] offset:24 th:TH_ATOMIC_RETURN scope:SCOPE_SYS
	s_wait_loadcnt 0x0
	global_inv scope:SCOPE_SYS
	s_wait_xcnt 0x0
	v_cmpx_ne_u64_e64 v[14:15], v[32:33]
	s_cbranch_execz .LBB14_92
; %bb.89:                               ;   in Loop: Header=BB14_31 Depth=1
	s_mov_b32 s5, 0
.LBB14_90:                              ;   Parent Loop BB14_31 Depth=1
                                        ; =>  This Inner Loop Header: Depth=2
	s_sleep 1
	s_clause 0x1
	global_load_b64 v[30:31], v35, s[2:3] offset:40
	global_load_b64 v[48:49], v35, s[2:3]
	v_mov_b64_e32 v[32:33], v[14:15]
	s_wait_loadcnt 0x1
	s_delay_alu instid0(VALU_DEP_1) | instskip(SKIP_1) | instid1(VALU_DEP_1)
	v_and_b32_e32 v3, v30, v32
	s_wait_loadcnt 0x0
	v_mad_nc_u64_u32 v[14:15], v3, 24, v[48:49]
	s_delay_alu instid0(VALU_DEP_3) | instskip(NEXT) | instid1(VALU_DEP_1)
	v_and_b32_e32 v3, v31, v33
	v_mad_u32 v15, v3, 24, v15
	global_load_b64 v[30:31], v[14:15], off scope:SCOPE_SYS
	s_wait_xcnt 0x0
	s_wait_loadcnt 0x0
	global_atomic_cmpswap_b64 v[14:15], v35, v[30:33], s[2:3] offset:24 th:TH_ATOMIC_RETURN scope:SCOPE_SYS
	s_wait_loadcnt 0x0
	global_inv scope:SCOPE_SYS
	v_cmp_eq_u64_e32 vcc_lo, v[14:15], v[32:33]
	s_or_b32 s5, vcc_lo, s5
	s_wait_xcnt 0x0
	s_and_not1_b32 exec_lo, exec_lo, s5
	s_cbranch_execnz .LBB14_90
; %bb.91:                               ;   in Loop: Header=BB14_31 Depth=1
	s_or_b32 exec_lo, exec_lo, s5
.LBB14_92:                              ;   in Loop: Header=BB14_31 Depth=1
	s_delay_alu instid0(SALU_CYCLE_1)
	s_or_b32 exec_lo, exec_lo, s4
.LBB14_93:                              ;   in Loop: Header=BB14_31 Depth=1
	s_delay_alu instid0(SALU_CYCLE_1)
	s_or_b32 exec_lo, exec_lo, s1
	s_clause 0x1
	global_load_b64 v[48:49], v35, s[2:3] offset:40
	global_load_b128 v[30:33], v35, s[2:3]
	v_readfirstlane_b32 s4, v14
	v_readfirstlane_b32 s5, v15
	s_mov_b32 s1, exec_lo
	s_wait_loadcnt 0x1
	v_and_b32_e32 v50, s4, v48
	v_and_b32_e32 v51, s5, v49
	s_delay_alu instid0(VALU_DEP_1) | instskip(SKIP_1) | instid1(VALU_DEP_1)
	v_mul_u64_e32 v[14:15], 24, v[50:51]
	s_wait_loadcnt 0x0
	v_add_nc_u64_e32 v[48:49], v[30:31], v[14:15]
	s_wait_xcnt 0x0
	s_and_saveexec_b32 s10, s0
	s_cbranch_execz .LBB14_95
; %bb.94:                               ;   in Loop: Header=BB14_31 Depth=1
	v_dual_mov_b32 v14, s1 :: v_dual_mov_b32 v15, v35
	global_store_b128 v[48:49], v[14:17], off offset:8
.LBB14_95:                              ;   in Loop: Header=BB14_31 Depth=1
	s_wait_xcnt 0x0
	s_or_b32 exec_lo, exec_lo, s10
	v_cmp_gt_u64_e32 vcc_lo, 57, v[4:5]
	v_lshlrev_b64_e32 v[14:15], 12, v[50:51]
	v_and_b32_e32 v8, 0xffffff1f, v8
	v_lshl_add_u32 v50, v38, 2, 28
	v_cndmask_b32_e32 v3, 0, v0, vcc_lo
	s_delay_alu instid0(VALU_DEP_4) | instskip(NEXT) | instid1(VALU_DEP_2)
	v_add_nc_u64_e32 v[14:15], v[32:33], v[14:15]
	v_or_b32_e32 v3, v8, v3
	s_delay_alu instid0(VALU_DEP_2) | instskip(NEXT) | instid1(VALU_DEP_3)
	v_readfirstlane_b32 s10, v14
	v_readfirstlane_b32 s11, v15
	s_delay_alu instid0(VALU_DEP_3)
	v_and_or_b32 v8, 0x1e0, v50, v3
	s_clause 0x3
	global_store_b128 v34, v[8:11], s[10:11]
	global_store_b128 v34, v[18:21], s[10:11] offset:16
	global_store_b128 v34, v[22:25], s[10:11] offset:32
	;; [unrolled: 1-line block ×3, first 2 shown]
	s_wait_xcnt 0x0
	s_and_saveexec_b32 s1, s0
	s_cbranch_execz .LBB14_103
; %bb.96:                               ;   in Loop: Header=BB14_31 Depth=1
	s_clause 0x1
	global_load_b64 v[22:23], v35, s[2:3] offset:32 scope:SCOPE_SYS
	global_load_b64 v[8:9], v35, s[2:3] offset:40
	s_mov_b32 s10, exec_lo
	v_dual_mov_b32 v20, s4 :: v_dual_mov_b32 v21, s5
	s_wait_loadcnt 0x0
	v_and_b32_e32 v9, s5, v9
	v_and_b32_e32 v8, s4, v8
	s_delay_alu instid0(VALU_DEP_1) | instskip(NEXT) | instid1(VALU_DEP_1)
	v_mul_u64_e32 v[8:9], 24, v[8:9]
	v_add_nc_u64_e32 v[18:19], v[30:31], v[8:9]
	global_store_b64 v[18:19], v[22:23], off
	global_wb scope:SCOPE_SYS
	s_wait_storecnt 0x0
	s_wait_xcnt 0x0
	global_atomic_cmpswap_b64 v[10:11], v35, v[20:23], s[2:3] offset:32 th:TH_ATOMIC_RETURN scope:SCOPE_SYS
	s_wait_loadcnt 0x0
	v_cmpx_ne_u64_e64 v[10:11], v[22:23]
	s_cbranch_execz .LBB14_99
; %bb.97:                               ;   in Loop: Header=BB14_31 Depth=1
	s_mov_b32 s11, 0
.LBB14_98:                              ;   Parent Loop BB14_31 Depth=1
                                        ; =>  This Inner Loop Header: Depth=2
	v_dual_mov_b32 v8, s4 :: v_dual_mov_b32 v9, s5
	s_sleep 1
	global_store_b64 v[18:19], v[10:11], off
	global_wb scope:SCOPE_SYS
	s_wait_storecnt 0x0
	s_wait_xcnt 0x0
	global_atomic_cmpswap_b64 v[8:9], v35, v[8:11], s[2:3] offset:32 th:TH_ATOMIC_RETURN scope:SCOPE_SYS
	s_wait_loadcnt 0x0
	v_cmp_eq_u64_e32 vcc_lo, v[8:9], v[10:11]
	v_mov_b64_e32 v[10:11], v[8:9]
	s_or_b32 s11, vcc_lo, s11
	s_delay_alu instid0(SALU_CYCLE_1)
	s_and_not1_b32 exec_lo, exec_lo, s11
	s_cbranch_execnz .LBB14_98
.LBB14_99:                              ;   in Loop: Header=BB14_31 Depth=1
	s_or_b32 exec_lo, exec_lo, s10
	global_load_b64 v[8:9], v35, s[2:3] offset:16
	s_mov_b32 s11, exec_lo
	s_mov_b32 s10, exec_lo
	v_mbcnt_lo_u32_b32 v3, s11, 0
	s_wait_xcnt 0x0
	s_delay_alu instid0(VALU_DEP_1)
	v_cmpx_eq_u32_e32 0, v3
	s_cbranch_execz .LBB14_101
; %bb.100:                              ;   in Loop: Header=BB14_31 Depth=1
	s_bcnt1_i32_b32 s11, s11
	s_delay_alu instid0(SALU_CYCLE_1)
	v_dual_mov_b32 v11, v35 :: v_dual_mov_b32 v10, s11
	global_wb scope:SCOPE_SYS
	s_wait_loadcnt 0x0
	s_wait_storecnt 0x0
	global_atomic_add_u64 v[8:9], v[10:11], off offset:8 scope:SCOPE_SYS
.LBB14_101:                             ;   in Loop: Header=BB14_31 Depth=1
	s_wait_xcnt 0x0
	s_or_b32 exec_lo, exec_lo, s10
	s_wait_loadcnt 0x0
	global_load_b64 v[10:11], v[8:9], off offset:16
	s_wait_loadcnt 0x0
	v_cmp_eq_u64_e32 vcc_lo, 0, v[10:11]
	s_cbranch_vccnz .LBB14_103
; %bb.102:                              ;   in Loop: Header=BB14_31 Depth=1
	global_load_b32 v8, v[8:9], off offset:24
	s_wait_xcnt 0x0
	v_mov_b32_e32 v9, v35
	s_wait_loadcnt 0x0
	v_readfirstlane_b32 s10, v8
	global_wb scope:SCOPE_SYS
	s_wait_storecnt 0x0
	global_store_b64 v[10:11], v[8:9], off scope:SCOPE_SYS
	s_and_b32 m0, s10, 0xffffff
	s_sendmsg sendmsg(MSG_INTERRUPT)
.LBB14_103:                             ;   in Loop: Header=BB14_31 Depth=1
	s_wait_xcnt 0x0
	s_or_b32 exec_lo, exec_lo, s1
	v_add_nc_u64_e32 v[8:9], v[14:15], v[34:35]
	s_branch .LBB14_107
.LBB14_104:                             ;   in Loop: Header=BB14_107 Depth=2
	s_wait_xcnt 0x0
	s_or_b32 exec_lo, exec_lo, s1
	s_delay_alu instid0(VALU_DEP_1)
	v_readfirstlane_b32 s1, v3
	s_cmp_eq_u32 s1, 0
	s_cbranch_scc1 .LBB14_106
; %bb.105:                              ;   in Loop: Header=BB14_107 Depth=2
	s_sleep 1
	s_cbranch_execnz .LBB14_107
	s_branch .LBB14_109
.LBB14_106:                             ;   in Loop: Header=BB14_31 Depth=1
	s_branch .LBB14_109
.LBB14_107:                             ;   Parent Loop BB14_31 Depth=1
                                        ; =>  This Inner Loop Header: Depth=2
	v_mov_b32_e32 v3, 1
	s_and_saveexec_b32 s1, s0
	s_cbranch_execz .LBB14_104
; %bb.108:                              ;   in Loop: Header=BB14_107 Depth=2
	global_load_b32 v3, v[48:49], off offset:20 scope:SCOPE_SYS
	s_wait_loadcnt 0x0
	global_inv scope:SCOPE_SYS
	v_and_b32_e32 v3, 1, v3
	s_branch .LBB14_104
.LBB14_109:                             ;   in Loop: Header=BB14_31 Depth=1
	global_load_b64 v[8:9], v[8:9], off
	s_wait_xcnt 0x0
	s_and_saveexec_b32 s10, s0
	s_cbranch_execz .LBB14_30
; %bb.110:                              ;   in Loop: Header=BB14_31 Depth=1
	s_clause 0x2
	global_load_b64 v[10:11], v35, s[2:3] offset:40
	global_load_b64 v[22:23], v35, s[2:3] offset:24 scope:SCOPE_SYS
	global_load_b64 v[14:15], v35, s[2:3]
	s_wait_loadcnt 0x2
	v_readfirstlane_b32 s12, v10
	v_readfirstlane_b32 s13, v11
	s_add_nc_u64 s[0:1], s[12:13], 1
	s_delay_alu instid0(SALU_CYCLE_1) | instskip(NEXT) | instid1(SALU_CYCLE_1)
	s_add_nc_u64 s[4:5], s[0:1], s[4:5]
	s_cmp_eq_u64 s[4:5], 0
	s_cselect_b32 s1, s1, s5
	s_cselect_b32 s0, s0, s4
	s_delay_alu instid0(SALU_CYCLE_1) | instskip(SKIP_1) | instid1(SALU_CYCLE_1)
	v_dual_mov_b32 v21, s1 :: v_dual_mov_b32 v20, s0
	s_and_b64 s[4:5], s[0:1], s[12:13]
	s_mul_u64 s[4:5], s[4:5], 24
	s_wait_loadcnt 0x0
	v_add_nc_u64_e32 v[10:11], s[4:5], v[14:15]
	global_store_b64 v[10:11], v[22:23], off
	global_wb scope:SCOPE_SYS
	s_wait_storecnt 0x0
	s_wait_xcnt 0x0
	global_atomic_cmpswap_b64 v[20:21], v35, v[20:23], s[2:3] offset:24 th:TH_ATOMIC_RETURN scope:SCOPE_SYS
	s_wait_loadcnt 0x0
	v_cmp_ne_u64_e32 vcc_lo, v[20:21], v[22:23]
	s_and_b32 exec_lo, exec_lo, vcc_lo
	s_cbranch_execz .LBB14_30
; %bb.111:                              ;   in Loop: Header=BB14_31 Depth=1
	s_mov_b32 s4, 0
.LBB14_112:                             ;   Parent Loop BB14_31 Depth=1
                                        ; =>  This Inner Loop Header: Depth=2
	v_dual_mov_b32 v18, s0 :: v_dual_mov_b32 v19, s1
	s_sleep 1
	global_store_b64 v[10:11], v[20:21], off
	global_wb scope:SCOPE_SYS
	s_wait_storecnt 0x0
	s_wait_xcnt 0x0
	global_atomic_cmpswap_b64 v[14:15], v35, v[18:21], s[2:3] offset:24 th:TH_ATOMIC_RETURN scope:SCOPE_SYS
	s_wait_loadcnt 0x0
	v_cmp_eq_u64_e32 vcc_lo, v[14:15], v[20:21]
	v_mov_b64_e32 v[20:21], v[14:15]
	s_or_b32 s4, vcc_lo, s4
	s_delay_alu instid0(SALU_CYCLE_1)
	s_and_not1_b32 exec_lo, exec_lo, s4
	s_cbranch_execnz .LBB14_112
	s_branch .LBB14_30
.LBB14_113:
                                        ; implicit-def: $vgpr8_vgpr9
	s_cbranch_execnz .LBB14_193
.LBB14_114:
	s_get_pc_i64 s[4:5]
	s_add_nc_u64 s[4:5], s[4:5], .str.6@rel64+4
	s_delay_alu instid0(SALU_CYCLE_1)
	s_cmp_lg_u64 s[4:5], 0
	s_cbranch_scc0 .LBB14_221
.LBB14_115:
	v_mov_b64_e32 v[16:17], 0x100000002
	s_get_pc_i64 s[0:1]
	s_add_nc_u64 s[0:1], s[0:1], .str.6@rel64+95
	s_wait_loadcnt 0x0
	v_dual_mov_b32 v15, 0 :: v_dual_bitop2_b32 v0, 2, v8 bitop3:0x40
	v_dual_mov_b32 v11, v9 :: v_dual_bitop2_b32 v10, -3, v8 bitop3:0x40
	s_sub_co_i32 s6, s0, s4
	s_delay_alu instid0(SALU_CYCLE_1)
	s_ashr_i32 s7, s6, 31
	s_branch .LBB14_117
.LBB14_116:                             ;   in Loop: Header=BB14_117 Depth=1
	s_or_b32 exec_lo, exec_lo, s14
	s_sub_nc_u64 s[6:7], s[6:7], s[10:11]
	s_add_nc_u64 s[4:5], s[4:5], s[10:11]
	s_cmp_lg_u64 s[6:7], 0
	s_cbranch_scc0 .LBB14_215
.LBB14_117:                             ; =>This Loop Header: Depth=1
                                        ;     Child Loop BB14_120 Depth 2
                                        ;     Child Loop BB14_127 Depth 2
	;; [unrolled: 1-line block ×11, first 2 shown]
	v_min_u64 v[4:5], s[6:7], 56
	v_cmp_gt_u64_e64 s0, s[6:7], 7
	s_and_b32 vcc_lo, exec_lo, s0
	v_readfirstlane_b32 s10, v4
	v_readfirstlane_b32 s11, v5
	s_cbranch_vccnz .LBB14_122
; %bb.118:                              ;   in Loop: Header=BB14_117 Depth=1
	v_mov_b64_e32 v[12:13], 0
	s_cmp_eq_u64 s[6:7], 0
	s_cbranch_scc1 .LBB14_121
; %bb.119:                              ;   in Loop: Header=BB14_117 Depth=1
	s_mov_b64 s[0:1], 0
	s_mov_b64 s[12:13], 0
.LBB14_120:                             ;   Parent Loop BB14_117 Depth=1
                                        ; =>  This Inner Loop Header: Depth=2
	s_wait_xcnt 0x0
	s_add_nc_u64 s[14:15], s[4:5], s[12:13]
	s_add_nc_u64 s[12:13], s[12:13], 1
	global_load_u8 v1, v15, s[14:15]
	s_cmp_lg_u32 s10, s12
	s_wait_loadcnt 0x0
	v_and_b32_e32 v14, 0xffff, v1
	s_delay_alu instid0(VALU_DEP_1) | instskip(SKIP_1) | instid1(VALU_DEP_1)
	v_lshlrev_b64_e32 v[4:5], s0, v[14:15]
	s_add_nc_u64 s[0:1], s[0:1], 8
	v_or_b32_e32 v12, v4, v12
	s_delay_alu instid0(VALU_DEP_2)
	v_or_b32_e32 v13, v5, v13
	s_cbranch_scc1 .LBB14_120
.LBB14_121:                             ;   in Loop: Header=BB14_117 Depth=1
	s_mov_b64 s[12:13], s[4:5]
	s_mov_b32 s16, 0
	s_cbranch_execz .LBB14_123
	s_branch .LBB14_124
.LBB14_122:                             ;   in Loop: Header=BB14_117 Depth=1
	s_add_nc_u64 s[12:13], s[4:5], 8
	s_mov_b32 s16, 0
.LBB14_123:                             ;   in Loop: Header=BB14_117 Depth=1
	global_load_b64 v[12:13], v15, s[4:5]
	s_add_co_i32 s16, s10, -8
.LBB14_124:                             ;   in Loop: Header=BB14_117 Depth=1
	s_delay_alu instid0(SALU_CYCLE_1)
	s_cmp_gt_u32 s16, 7
	s_cbranch_scc1 .LBB14_129
; %bb.125:                              ;   in Loop: Header=BB14_117 Depth=1
	v_mov_b64_e32 v[18:19], 0
	s_cmp_eq_u32 s16, 0
	s_cbranch_scc1 .LBB14_128
; %bb.126:                              ;   in Loop: Header=BB14_117 Depth=1
	s_mov_b64 s[0:1], 0
	s_wait_xcnt 0x0
	s_mov_b64 s[14:15], 0
.LBB14_127:                             ;   Parent Loop BB14_117 Depth=1
                                        ; =>  This Inner Loop Header: Depth=2
	s_wait_xcnt 0x0
	s_add_nc_u64 s[18:19], s[12:13], s[14:15]
	s_add_nc_u64 s[14:15], s[14:15], 1
	global_load_u8 v1, v15, s[18:19]
	s_cmp_lg_u32 s16, s14
	s_wait_loadcnt 0x0
	v_and_b32_e32 v14, 0xffff, v1
	s_delay_alu instid0(VALU_DEP_1) | instskip(SKIP_1) | instid1(VALU_DEP_1)
	v_lshlrev_b64_e32 v[4:5], s0, v[14:15]
	s_add_nc_u64 s[0:1], s[0:1], 8
	v_or_b32_e32 v18, v4, v18
	s_delay_alu instid0(VALU_DEP_2)
	v_or_b32_e32 v19, v5, v19
	s_cbranch_scc1 .LBB14_127
.LBB14_128:                             ;   in Loop: Header=BB14_117 Depth=1
	s_wait_xcnt 0x0
	s_mov_b64 s[0:1], s[12:13]
	s_mov_b32 s17, 0
	s_cbranch_execz .LBB14_130
	s_branch .LBB14_131
.LBB14_129:                             ;   in Loop: Header=BB14_117 Depth=1
	s_add_nc_u64 s[0:1], s[12:13], 8
	s_wait_xcnt 0x0
                                        ; implicit-def: $vgpr18_vgpr19
	s_mov_b32 s17, 0
.LBB14_130:                             ;   in Loop: Header=BB14_117 Depth=1
	global_load_b64 v[18:19], v15, s[12:13]
	s_add_co_i32 s17, s16, -8
.LBB14_131:                             ;   in Loop: Header=BB14_117 Depth=1
	s_delay_alu instid0(SALU_CYCLE_1)
	s_cmp_gt_u32 s17, 7
	s_cbranch_scc1 .LBB14_136
; %bb.132:                              ;   in Loop: Header=BB14_117 Depth=1
	v_mov_b64_e32 v[20:21], 0
	s_cmp_eq_u32 s17, 0
	s_cbranch_scc1 .LBB14_135
; %bb.133:                              ;   in Loop: Header=BB14_117 Depth=1
	s_wait_xcnt 0x0
	s_mov_b64 s[12:13], 0
	s_mov_b64 s[14:15], 0
.LBB14_134:                             ;   Parent Loop BB14_117 Depth=1
                                        ; =>  This Inner Loop Header: Depth=2
	s_wait_xcnt 0x0
	s_add_nc_u64 s[18:19], s[0:1], s[14:15]
	s_add_nc_u64 s[14:15], s[14:15], 1
	global_load_u8 v1, v15, s[18:19]
	s_cmp_lg_u32 s17, s14
	s_wait_loadcnt 0x0
	v_and_b32_e32 v14, 0xffff, v1
	s_delay_alu instid0(VALU_DEP_1) | instskip(SKIP_1) | instid1(VALU_DEP_1)
	v_lshlrev_b64_e32 v[4:5], s12, v[14:15]
	s_add_nc_u64 s[12:13], s[12:13], 8
	v_or_b32_e32 v20, v4, v20
	s_delay_alu instid0(VALU_DEP_2)
	v_or_b32_e32 v21, v5, v21
	s_cbranch_scc1 .LBB14_134
.LBB14_135:                             ;   in Loop: Header=BB14_117 Depth=1
	s_wait_xcnt 0x0
	s_mov_b64 s[12:13], s[0:1]
	s_mov_b32 s16, 0
	s_cbranch_execz .LBB14_137
	s_branch .LBB14_138
.LBB14_136:                             ;   in Loop: Header=BB14_117 Depth=1
	s_wait_xcnt 0x0
	s_add_nc_u64 s[12:13], s[0:1], 8
	s_mov_b32 s16, 0
.LBB14_137:                             ;   in Loop: Header=BB14_117 Depth=1
	global_load_b64 v[20:21], v15, s[0:1]
	s_add_co_i32 s16, s17, -8
.LBB14_138:                             ;   in Loop: Header=BB14_117 Depth=1
	s_delay_alu instid0(SALU_CYCLE_1)
	s_cmp_gt_u32 s16, 7
	s_cbranch_scc1 .LBB14_143
; %bb.139:                              ;   in Loop: Header=BB14_117 Depth=1
	v_mov_b64_e32 v[22:23], 0
	s_cmp_eq_u32 s16, 0
	s_cbranch_scc1 .LBB14_142
; %bb.140:                              ;   in Loop: Header=BB14_117 Depth=1
	s_wait_xcnt 0x0
	s_mov_b64 s[0:1], 0
	s_mov_b64 s[14:15], 0
.LBB14_141:                             ;   Parent Loop BB14_117 Depth=1
                                        ; =>  This Inner Loop Header: Depth=2
	s_wait_xcnt 0x0
	s_add_nc_u64 s[18:19], s[12:13], s[14:15]
	s_add_nc_u64 s[14:15], s[14:15], 1
	global_load_u8 v1, v15, s[18:19]
	s_cmp_lg_u32 s16, s14
	s_wait_loadcnt 0x0
	v_and_b32_e32 v14, 0xffff, v1
	s_delay_alu instid0(VALU_DEP_1) | instskip(SKIP_1) | instid1(VALU_DEP_1)
	v_lshlrev_b64_e32 v[4:5], s0, v[14:15]
	s_add_nc_u64 s[0:1], s[0:1], 8
	v_or_b32_e32 v22, v4, v22
	s_delay_alu instid0(VALU_DEP_2)
	v_or_b32_e32 v23, v5, v23
	s_cbranch_scc1 .LBB14_141
.LBB14_142:                             ;   in Loop: Header=BB14_117 Depth=1
	s_wait_xcnt 0x0
	s_mov_b64 s[0:1], s[12:13]
	s_mov_b32 s17, 0
	s_cbranch_execz .LBB14_144
	s_branch .LBB14_145
.LBB14_143:                             ;   in Loop: Header=BB14_117 Depth=1
	s_wait_xcnt 0x0
	s_add_nc_u64 s[0:1], s[12:13], 8
                                        ; implicit-def: $vgpr22_vgpr23
	s_mov_b32 s17, 0
.LBB14_144:                             ;   in Loop: Header=BB14_117 Depth=1
	global_load_b64 v[22:23], v15, s[12:13]
	s_add_co_i32 s17, s16, -8
.LBB14_145:                             ;   in Loop: Header=BB14_117 Depth=1
	s_delay_alu instid0(SALU_CYCLE_1)
	s_cmp_gt_u32 s17, 7
	s_cbranch_scc1 .LBB14_150
; %bb.146:                              ;   in Loop: Header=BB14_117 Depth=1
	v_mov_b64_e32 v[24:25], 0
	s_cmp_eq_u32 s17, 0
	s_cbranch_scc1 .LBB14_149
; %bb.147:                              ;   in Loop: Header=BB14_117 Depth=1
	s_wait_xcnt 0x0
	s_mov_b64 s[12:13], 0
	s_mov_b64 s[14:15], 0
.LBB14_148:                             ;   Parent Loop BB14_117 Depth=1
                                        ; =>  This Inner Loop Header: Depth=2
	s_wait_xcnt 0x0
	s_add_nc_u64 s[18:19], s[0:1], s[14:15]
	s_add_nc_u64 s[14:15], s[14:15], 1
	global_load_u8 v1, v15, s[18:19]
	s_cmp_lg_u32 s17, s14
	s_wait_loadcnt 0x0
	v_and_b32_e32 v14, 0xffff, v1
	s_delay_alu instid0(VALU_DEP_1) | instskip(SKIP_1) | instid1(VALU_DEP_1)
	v_lshlrev_b64_e32 v[4:5], s12, v[14:15]
	s_add_nc_u64 s[12:13], s[12:13], 8
	v_or_b32_e32 v24, v4, v24
	s_delay_alu instid0(VALU_DEP_2)
	v_or_b32_e32 v25, v5, v25
	s_cbranch_scc1 .LBB14_148
.LBB14_149:                             ;   in Loop: Header=BB14_117 Depth=1
	s_wait_xcnt 0x0
	s_mov_b64 s[12:13], s[0:1]
	s_mov_b32 s16, 0
	s_cbranch_execz .LBB14_151
	s_branch .LBB14_152
.LBB14_150:                             ;   in Loop: Header=BB14_117 Depth=1
	s_wait_xcnt 0x0
	s_add_nc_u64 s[12:13], s[0:1], 8
	s_mov_b32 s16, 0
.LBB14_151:                             ;   in Loop: Header=BB14_117 Depth=1
	global_load_b64 v[24:25], v15, s[0:1]
	s_add_co_i32 s16, s17, -8
.LBB14_152:                             ;   in Loop: Header=BB14_117 Depth=1
	s_delay_alu instid0(SALU_CYCLE_1)
	s_cmp_gt_u32 s16, 7
	s_cbranch_scc1 .LBB14_157
; %bb.153:                              ;   in Loop: Header=BB14_117 Depth=1
	v_mov_b64_e32 v[26:27], 0
	s_cmp_eq_u32 s16, 0
	s_cbranch_scc1 .LBB14_156
; %bb.154:                              ;   in Loop: Header=BB14_117 Depth=1
	s_wait_xcnt 0x0
	s_mov_b64 s[0:1], 0
	s_mov_b64 s[14:15], 0
.LBB14_155:                             ;   Parent Loop BB14_117 Depth=1
                                        ; =>  This Inner Loop Header: Depth=2
	s_wait_xcnt 0x0
	s_add_nc_u64 s[18:19], s[12:13], s[14:15]
	s_add_nc_u64 s[14:15], s[14:15], 1
	global_load_u8 v1, v15, s[18:19]
	s_cmp_lg_u32 s16, s14
	s_wait_loadcnt 0x0
	v_and_b32_e32 v14, 0xffff, v1
	s_delay_alu instid0(VALU_DEP_1) | instskip(SKIP_1) | instid1(VALU_DEP_1)
	v_lshlrev_b64_e32 v[4:5], s0, v[14:15]
	s_add_nc_u64 s[0:1], s[0:1], 8
	v_or_b32_e32 v26, v4, v26
	s_delay_alu instid0(VALU_DEP_2)
	v_or_b32_e32 v27, v5, v27
	s_cbranch_scc1 .LBB14_155
.LBB14_156:                             ;   in Loop: Header=BB14_117 Depth=1
	s_wait_xcnt 0x0
	s_mov_b64 s[0:1], s[12:13]
	s_mov_b32 s17, 0
	s_cbranch_execz .LBB14_158
	s_branch .LBB14_159
.LBB14_157:                             ;   in Loop: Header=BB14_117 Depth=1
	s_wait_xcnt 0x0
	s_add_nc_u64 s[0:1], s[12:13], 8
                                        ; implicit-def: $vgpr26_vgpr27
	s_mov_b32 s17, 0
.LBB14_158:                             ;   in Loop: Header=BB14_117 Depth=1
	global_load_b64 v[26:27], v15, s[12:13]
	s_add_co_i32 s17, s16, -8
.LBB14_159:                             ;   in Loop: Header=BB14_117 Depth=1
	s_delay_alu instid0(SALU_CYCLE_1)
	s_cmp_gt_u32 s17, 7
	s_cbranch_scc1 .LBB14_164
; %bb.160:                              ;   in Loop: Header=BB14_117 Depth=1
	v_mov_b64_e32 v[28:29], 0
	s_cmp_eq_u32 s17, 0
	s_cbranch_scc1 .LBB14_163
; %bb.161:                              ;   in Loop: Header=BB14_117 Depth=1
	s_wait_xcnt 0x0
	s_mov_b64 s[12:13], 0
	s_mov_b64 s[14:15], s[0:1]
.LBB14_162:                             ;   Parent Loop BB14_117 Depth=1
                                        ; =>  This Inner Loop Header: Depth=2
	global_load_u8 v1, v15, s[14:15]
	s_add_co_i32 s17, s17, -1
	s_wait_xcnt 0x0
	s_add_nc_u64 s[14:15], s[14:15], 1
	s_cmp_lg_u32 s17, 0
	s_wait_loadcnt 0x0
	v_and_b32_e32 v14, 0xffff, v1
	s_delay_alu instid0(VALU_DEP_1) | instskip(SKIP_1) | instid1(VALU_DEP_1)
	v_lshlrev_b64_e32 v[4:5], s12, v[14:15]
	s_add_nc_u64 s[12:13], s[12:13], 8
	v_or_b32_e32 v28, v4, v28
	s_delay_alu instid0(VALU_DEP_2)
	v_or_b32_e32 v29, v5, v29
	s_cbranch_scc1 .LBB14_162
.LBB14_163:                             ;   in Loop: Header=BB14_117 Depth=1
	s_wait_xcnt 0x0
	s_cbranch_execz .LBB14_165
	s_branch .LBB14_166
.LBB14_164:                             ;   in Loop: Header=BB14_117 Depth=1
	s_wait_xcnt 0x0
.LBB14_165:                             ;   in Loop: Header=BB14_117 Depth=1
	global_load_b64 v[28:29], v15, s[0:1]
.LBB14_166:                             ;   in Loop: Header=BB14_117 Depth=1
	s_wait_xcnt 0x0
	v_readfirstlane_b32 s0, v52
	v_mov_b64_e32 v[4:5], 0
	s_delay_alu instid0(VALU_DEP_2)
	v_cmp_eq_u32_e64 s0, s0, v52
	s_and_saveexec_b32 s1, s0
	s_cbranch_execz .LBB14_172
; %bb.167:                              ;   in Loop: Header=BB14_117 Depth=1
	global_load_b64 v[32:33], v15, s[2:3] offset:24 scope:SCOPE_SYS
	s_wait_loadcnt 0x0
	global_inv scope:SCOPE_SYS
	s_clause 0x1
	global_load_b64 v[4:5], v15, s[2:3] offset:40
	global_load_b64 v[30:31], v15, s[2:3]
	s_mov_b32 s12, exec_lo
	s_wait_loadcnt 0x1
	v_and_b32_e32 v4, v4, v32
	v_and_b32_e32 v5, v5, v33
	s_delay_alu instid0(VALU_DEP_1) | instskip(SKIP_1) | instid1(VALU_DEP_1)
	v_mul_u64_e32 v[4:5], 24, v[4:5]
	s_wait_loadcnt 0x0
	v_add_nc_u64_e32 v[4:5], v[30:31], v[4:5]
	global_load_b64 v[30:31], v[4:5], off scope:SCOPE_SYS
	s_wait_xcnt 0x0
	s_wait_loadcnt 0x0
	global_atomic_cmpswap_b64 v[4:5], v15, v[30:33], s[2:3] offset:24 th:TH_ATOMIC_RETURN scope:SCOPE_SYS
	s_wait_loadcnt 0x0
	global_inv scope:SCOPE_SYS
	s_wait_xcnt 0x0
	v_cmpx_ne_u64_e64 v[4:5], v[32:33]
	s_cbranch_execz .LBB14_171
; %bb.168:                              ;   in Loop: Header=BB14_117 Depth=1
	s_mov_b32 s13, 0
.LBB14_169:                             ;   Parent Loop BB14_117 Depth=1
                                        ; =>  This Inner Loop Header: Depth=2
	s_sleep 1
	s_clause 0x1
	global_load_b64 v[30:31], v15, s[2:3] offset:40
	global_load_b64 v[38:39], v15, s[2:3]
	v_mov_b64_e32 v[32:33], v[4:5]
	s_wait_loadcnt 0x1
	s_delay_alu instid0(VALU_DEP_1) | instskip(SKIP_1) | instid1(VALU_DEP_1)
	v_and_b32_e32 v1, v30, v32
	s_wait_loadcnt 0x0
	v_mad_nc_u64_u32 v[4:5], v1, 24, v[38:39]
	s_delay_alu instid0(VALU_DEP_3) | instskip(NEXT) | instid1(VALU_DEP_1)
	v_and_b32_e32 v1, v31, v33
	v_mad_u32 v5, v1, 24, v5
	global_load_b64 v[30:31], v[4:5], off scope:SCOPE_SYS
	s_wait_xcnt 0x0
	s_wait_loadcnt 0x0
	global_atomic_cmpswap_b64 v[4:5], v15, v[30:33], s[2:3] offset:24 th:TH_ATOMIC_RETURN scope:SCOPE_SYS
	s_wait_loadcnt 0x0
	global_inv scope:SCOPE_SYS
	v_cmp_eq_u64_e32 vcc_lo, v[4:5], v[32:33]
	s_or_b32 s13, vcc_lo, s13
	s_wait_xcnt 0x0
	s_and_not1_b32 exec_lo, exec_lo, s13
	s_cbranch_execnz .LBB14_169
; %bb.170:                              ;   in Loop: Header=BB14_117 Depth=1
	s_or_b32 exec_lo, exec_lo, s13
.LBB14_171:                             ;   in Loop: Header=BB14_117 Depth=1
	s_delay_alu instid0(SALU_CYCLE_1)
	s_or_b32 exec_lo, exec_lo, s12
.LBB14_172:                             ;   in Loop: Header=BB14_117 Depth=1
	s_delay_alu instid0(SALU_CYCLE_1)
	s_or_b32 exec_lo, exec_lo, s1
	s_clause 0x1
	global_load_b64 v[38:39], v15, s[2:3] offset:40
	global_load_b128 v[30:33], v15, s[2:3]
	v_readfirstlane_b32 s12, v4
	v_readfirstlane_b32 s13, v5
	s_mov_b32 s1, exec_lo
	s_wait_loadcnt 0x1
	v_and_b32_e32 v38, s12, v38
	v_and_b32_e32 v39, s13, v39
	s_delay_alu instid0(VALU_DEP_1) | instskip(SKIP_1) | instid1(VALU_DEP_1)
	v_mul_u64_e32 v[4:5], 24, v[38:39]
	s_wait_loadcnt 0x0
	v_add_nc_u64_e32 v[4:5], v[30:31], v[4:5]
	s_wait_xcnt 0x0
	s_and_saveexec_b32 s14, s0
	s_cbranch_execz .LBB14_174
; %bb.173:                              ;   in Loop: Header=BB14_117 Depth=1
	v_mov_b32_e32 v14, s1
	global_store_b128 v[4:5], v[14:17], off offset:8
.LBB14_174:                             ;   in Loop: Header=BB14_117 Depth=1
	s_wait_xcnt 0x0
	s_or_b32 exec_lo, exec_lo, s14
	v_cmp_lt_u64_e64 vcc_lo, s[6:7], 57
	v_lshlrev_b64_e32 v[38:39], 12, v[38:39]
	v_and_b32_e32 v3, 0xffffff1f, v10
	s_lshl_b32 s1, s10, 2
	s_delay_alu instid0(SALU_CYCLE_1) | instskip(SKIP_1) | instid1(VALU_DEP_3)
	s_add_co_i32 s1, s1, 28
	v_cndmask_b32_e32 v1, 0, v0, vcc_lo
	v_add_nc_u64_e32 v[32:33], v[32:33], v[38:39]
	s_delay_alu instid0(VALU_DEP_2) | instskip(NEXT) | instid1(VALU_DEP_2)
	v_or_b32_e32 v1, v3, v1
	v_readfirstlane_b32 s14, v32
	s_delay_alu instid0(VALU_DEP_3) | instskip(NEXT) | instid1(VALU_DEP_3)
	v_readfirstlane_b32 s15, v33
	v_and_or_b32 v10, 0x1e0, s1, v1
	s_clause 0x3
	global_store_b128 v34, v[10:13], s[14:15]
	global_store_b128 v34, v[18:21], s[14:15] offset:16
	global_store_b128 v34, v[22:25], s[14:15] offset:32
	;; [unrolled: 1-line block ×3, first 2 shown]
	s_wait_xcnt 0x0
	s_and_saveexec_b32 s1, s0
	s_cbranch_execz .LBB14_182
; %bb.175:                              ;   in Loop: Header=BB14_117 Depth=1
	s_clause 0x1
	global_load_b64 v[22:23], v15, s[2:3] offset:32 scope:SCOPE_SYS
	global_load_b64 v[10:11], v15, s[2:3] offset:40
	s_mov_b32 s14, exec_lo
	v_dual_mov_b32 v20, s12 :: v_dual_mov_b32 v21, s13
	s_wait_loadcnt 0x0
	v_and_b32_e32 v11, s13, v11
	v_and_b32_e32 v10, s12, v10
	s_delay_alu instid0(VALU_DEP_1) | instskip(NEXT) | instid1(VALU_DEP_1)
	v_mul_u64_e32 v[10:11], 24, v[10:11]
	v_add_nc_u64_e32 v[18:19], v[30:31], v[10:11]
	global_store_b64 v[18:19], v[22:23], off
	global_wb scope:SCOPE_SYS
	s_wait_storecnt 0x0
	s_wait_xcnt 0x0
	global_atomic_cmpswap_b64 v[12:13], v15, v[20:23], s[2:3] offset:32 th:TH_ATOMIC_RETURN scope:SCOPE_SYS
	s_wait_loadcnt 0x0
	v_cmpx_ne_u64_e64 v[12:13], v[22:23]
	s_cbranch_execz .LBB14_178
; %bb.176:                              ;   in Loop: Header=BB14_117 Depth=1
	s_mov_b32 s15, 0
.LBB14_177:                             ;   Parent Loop BB14_117 Depth=1
                                        ; =>  This Inner Loop Header: Depth=2
	v_dual_mov_b32 v10, s12 :: v_dual_mov_b32 v11, s13
	s_sleep 1
	global_store_b64 v[18:19], v[12:13], off
	global_wb scope:SCOPE_SYS
	s_wait_storecnt 0x0
	s_wait_xcnt 0x0
	global_atomic_cmpswap_b64 v[10:11], v15, v[10:13], s[2:3] offset:32 th:TH_ATOMIC_RETURN scope:SCOPE_SYS
	s_wait_loadcnt 0x0
	v_cmp_eq_u64_e32 vcc_lo, v[10:11], v[12:13]
	v_mov_b64_e32 v[12:13], v[10:11]
	s_or_b32 s15, vcc_lo, s15
	s_delay_alu instid0(SALU_CYCLE_1)
	s_and_not1_b32 exec_lo, exec_lo, s15
	s_cbranch_execnz .LBB14_177
.LBB14_178:                             ;   in Loop: Header=BB14_117 Depth=1
	s_or_b32 exec_lo, exec_lo, s14
	global_load_b64 v[10:11], v15, s[2:3] offset:16
	s_mov_b32 s15, exec_lo
	s_mov_b32 s14, exec_lo
	v_mbcnt_lo_u32_b32 v1, s15, 0
	s_wait_xcnt 0x0
	s_delay_alu instid0(VALU_DEP_1)
	v_cmpx_eq_u32_e32 0, v1
	s_cbranch_execz .LBB14_180
; %bb.179:                              ;   in Loop: Header=BB14_117 Depth=1
	s_bcnt1_i32_b32 s15, s15
	s_delay_alu instid0(SALU_CYCLE_1)
	v_mov_b32_e32 v14, s15
	global_wb scope:SCOPE_SYS
	s_wait_loadcnt 0x0
	s_wait_storecnt 0x0
	global_atomic_add_u64 v[10:11], v[14:15], off offset:8 scope:SCOPE_SYS
.LBB14_180:                             ;   in Loop: Header=BB14_117 Depth=1
	s_wait_xcnt 0x0
	s_or_b32 exec_lo, exec_lo, s14
	s_wait_loadcnt 0x0
	global_load_b64 v[12:13], v[10:11], off offset:16
	s_wait_loadcnt 0x0
	v_cmp_eq_u64_e32 vcc_lo, 0, v[12:13]
	s_cbranch_vccnz .LBB14_182
; %bb.181:                              ;   in Loop: Header=BB14_117 Depth=1
	global_load_b32 v14, v[10:11], off offset:24
	s_wait_loadcnt 0x0
	v_readfirstlane_b32 s14, v14
	global_wb scope:SCOPE_SYS
	s_wait_storecnt 0x0
	s_wait_xcnt 0x0
	global_store_b64 v[12:13], v[14:15], off scope:SCOPE_SYS
	s_and_b32 m0, s14, 0xffffff
	s_sendmsg sendmsg(MSG_INTERRUPT)
.LBB14_182:                             ;   in Loop: Header=BB14_117 Depth=1
	s_wait_xcnt 0x0
	s_or_b32 exec_lo, exec_lo, s1
	v_mov_b32_e32 v35, v15
	s_delay_alu instid0(VALU_DEP_1)
	v_add_nc_u64_e32 v[10:11], v[32:33], v[34:35]
	s_branch .LBB14_186
.LBB14_183:                             ;   in Loop: Header=BB14_186 Depth=2
	s_wait_xcnt 0x0
	s_or_b32 exec_lo, exec_lo, s1
	s_delay_alu instid0(VALU_DEP_1)
	v_readfirstlane_b32 s1, v1
	s_cmp_eq_u32 s1, 0
	s_cbranch_scc1 .LBB14_185
; %bb.184:                              ;   in Loop: Header=BB14_186 Depth=2
	s_sleep 1
	s_cbranch_execnz .LBB14_186
	s_branch .LBB14_188
.LBB14_185:                             ;   in Loop: Header=BB14_117 Depth=1
	s_branch .LBB14_188
.LBB14_186:                             ;   Parent Loop BB14_117 Depth=1
                                        ; =>  This Inner Loop Header: Depth=2
	v_mov_b32_e32 v1, 1
	s_and_saveexec_b32 s1, s0
	s_cbranch_execz .LBB14_183
; %bb.187:                              ;   in Loop: Header=BB14_186 Depth=2
	global_load_b32 v1, v[4:5], off offset:20 scope:SCOPE_SYS
	s_wait_loadcnt 0x0
	global_inv scope:SCOPE_SYS
	v_and_b32_e32 v1, 1, v1
	s_branch .LBB14_183
.LBB14_188:                             ;   in Loop: Header=BB14_117 Depth=1
	global_load_b64 v[10:11], v[10:11], off
	s_wait_xcnt 0x0
	s_and_saveexec_b32 s14, s0
	s_cbranch_execz .LBB14_116
; %bb.189:                              ;   in Loop: Header=BB14_117 Depth=1
	s_clause 0x2
	global_load_b64 v[4:5], v15, s[2:3] offset:40
	global_load_b64 v[22:23], v15, s[2:3] offset:24 scope:SCOPE_SYS
	global_load_b64 v[12:13], v15, s[2:3]
	s_wait_loadcnt 0x2
	v_readfirstlane_b32 s16, v4
	v_readfirstlane_b32 s17, v5
	s_add_nc_u64 s[0:1], s[16:17], 1
	s_delay_alu instid0(SALU_CYCLE_1) | instskip(NEXT) | instid1(SALU_CYCLE_1)
	s_add_nc_u64 s[12:13], s[0:1], s[12:13]
	s_cmp_eq_u64 s[12:13], 0
	s_cselect_b32 s1, s1, s13
	s_cselect_b32 s0, s0, s12
	s_delay_alu instid0(SALU_CYCLE_1) | instskip(SKIP_1) | instid1(SALU_CYCLE_1)
	v_dual_mov_b32 v21, s1 :: v_dual_mov_b32 v20, s0
	s_and_b64 s[12:13], s[0:1], s[16:17]
	s_mul_u64 s[12:13], s[12:13], 24
	s_wait_loadcnt 0x0
	v_add_nc_u64_e32 v[4:5], s[12:13], v[12:13]
	global_store_b64 v[4:5], v[22:23], off
	global_wb scope:SCOPE_SYS
	s_wait_storecnt 0x0
	s_wait_xcnt 0x0
	global_atomic_cmpswap_b64 v[20:21], v15, v[20:23], s[2:3] offset:24 th:TH_ATOMIC_RETURN scope:SCOPE_SYS
	s_wait_loadcnt 0x0
	v_cmp_ne_u64_e32 vcc_lo, v[20:21], v[22:23]
	s_and_b32 exec_lo, exec_lo, vcc_lo
	s_cbranch_execz .LBB14_116
; %bb.190:                              ;   in Loop: Header=BB14_117 Depth=1
	s_mov_b32 s12, 0
.LBB14_191:                             ;   Parent Loop BB14_117 Depth=1
                                        ; =>  This Inner Loop Header: Depth=2
	v_dual_mov_b32 v18, s0 :: v_dual_mov_b32 v19, s1
	s_sleep 1
	global_store_b64 v[4:5], v[20:21], off
	global_wb scope:SCOPE_SYS
	s_wait_storecnt 0x0
	s_wait_xcnt 0x0
	global_atomic_cmpswap_b64 v[12:13], v15, v[18:21], s[2:3] offset:24 th:TH_ATOMIC_RETURN scope:SCOPE_SYS
	s_wait_loadcnt 0x0
	v_cmp_eq_u64_e32 vcc_lo, v[12:13], v[20:21]
	v_mov_b64_e32 v[20:21], v[12:13]
	s_or_b32 s12, vcc_lo, s12
	s_delay_alu instid0(SALU_CYCLE_1)
	s_and_not1_b32 exec_lo, exec_lo, s12
	s_cbranch_execnz .LBB14_191
	s_branch .LBB14_116
.LBB14_192:
	s_or_b32 exec_lo, exec_lo, s6
	s_branch .LBB14_114
.LBB14_193:
	v_readfirstlane_b32 s0, v52
	v_mov_b64_e32 v[0:1], 0
	s_delay_alu instid0(VALU_DEP_2)
	v_cmp_eq_u32_e64 s0, s0, v52
	s_and_saveexec_b32 s1, s0
	s_cbranch_execz .LBB14_199
; %bb.194:
	v_mov_b32_e32 v3, 0
	s_mov_b32 s4, exec_lo
	global_load_b64 v[10:11], v3, s[2:3] offset:24 scope:SCOPE_SYS
	s_wait_loadcnt 0x0
	global_inv scope:SCOPE_SYS
	s_clause 0x1
	global_load_b64 v[0:1], v3, s[2:3] offset:40
	global_load_b64 v[4:5], v3, s[2:3]
	s_wait_loadcnt 0x1
	v_and_b32_e32 v0, v0, v10
	v_and_b32_e32 v1, v1, v11
	s_delay_alu instid0(VALU_DEP_1) | instskip(SKIP_1) | instid1(VALU_DEP_1)
	v_mul_u64_e32 v[0:1], 24, v[0:1]
	s_wait_loadcnt 0x0
	v_add_nc_u64_e32 v[0:1], v[4:5], v[0:1]
	global_load_b64 v[8:9], v[0:1], off scope:SCOPE_SYS
	s_wait_xcnt 0x0
	s_wait_loadcnt 0x0
	global_atomic_cmpswap_b64 v[0:1], v3, v[8:11], s[2:3] offset:24 th:TH_ATOMIC_RETURN scope:SCOPE_SYS
	s_wait_loadcnt 0x0
	global_inv scope:SCOPE_SYS
	s_wait_xcnt 0x0
	v_cmpx_ne_u64_e64 v[0:1], v[10:11]
	s_cbranch_execz .LBB14_198
; %bb.195:
	s_mov_b32 s5, 0
.LBB14_196:                             ; =>This Inner Loop Header: Depth=1
	s_sleep 1
	s_clause 0x1
	global_load_b64 v[4:5], v3, s[2:3] offset:40
	global_load_b64 v[8:9], v3, s[2:3]
	v_mov_b64_e32 v[10:11], v[0:1]
	s_wait_loadcnt 0x1
	s_delay_alu instid0(VALU_DEP_1) | instskip(NEXT) | instid1(VALU_DEP_2)
	v_and_b32_e32 v0, v4, v10
	v_and_b32_e32 v4, v5, v11
	s_wait_loadcnt 0x0
	s_delay_alu instid0(VALU_DEP_2) | instskip(NEXT) | instid1(VALU_DEP_1)
	v_mad_nc_u64_u32 v[0:1], v0, 24, v[8:9]
	v_mad_u32 v1, v4, 24, v1
	global_load_b64 v[8:9], v[0:1], off scope:SCOPE_SYS
	s_wait_xcnt 0x0
	s_wait_loadcnt 0x0
	global_atomic_cmpswap_b64 v[0:1], v3, v[8:11], s[2:3] offset:24 th:TH_ATOMIC_RETURN scope:SCOPE_SYS
	s_wait_loadcnt 0x0
	global_inv scope:SCOPE_SYS
	v_cmp_eq_u64_e32 vcc_lo, v[0:1], v[10:11]
	s_or_b32 s5, vcc_lo, s5
	s_wait_xcnt 0x0
	s_and_not1_b32 exec_lo, exec_lo, s5
	s_cbranch_execnz .LBB14_196
; %bb.197:
	s_or_b32 exec_lo, exec_lo, s5
.LBB14_198:
	s_delay_alu instid0(SALU_CYCLE_1)
	s_or_b32 exec_lo, exec_lo, s4
.LBB14_199:
	s_delay_alu instid0(SALU_CYCLE_1)
	s_or_b32 exec_lo, exec_lo, s1
	v_readfirstlane_b32 s4, v0
	v_mov_b32_e32 v35, 0
	v_readfirstlane_b32 s5, v1
	s_mov_b32 s1, exec_lo
	global_load_b64 v[4:5], v35, s[2:3] offset:40
	s_wait_loadcnt 0x1
	global_load_b128 v[8:11], v35, s[2:3]
	s_wait_loadcnt 0x1
	v_and_b32_e32 v4, s4, v4
	v_and_b32_e32 v5, s5, v5
	s_delay_alu instid0(VALU_DEP_1) | instskip(SKIP_1) | instid1(VALU_DEP_1)
	v_mul_u64_e32 v[0:1], 24, v[4:5]
	s_wait_loadcnt 0x0
	v_add_nc_u64_e32 v[0:1], v[8:9], v[0:1]
	s_wait_xcnt 0x0
	s_and_saveexec_b32 s6, s0
	s_cbranch_execz .LBB14_201
; %bb.200:
	v_mov_b64_e32 v[16:17], 0x100000002
	v_dual_mov_b32 v14, s1 :: v_dual_mov_b32 v15, v35
	global_store_b128 v[0:1], v[14:17], off offset:8
.LBB14_201:
	s_wait_xcnt 0x0
	s_or_b32 exec_lo, exec_lo, s6
	v_lshlrev_b64_e32 v[4:5], 12, v[4:5]
	s_mov_b32 s12, 0
	v_and_or_b32 v12, 0xffffff1f, v12, 32
	s_mov_b32 s14, s12
	s_mov_b32 s15, s12
	;; [unrolled: 1-line block ×3, first 2 shown]
	v_mov_b64_e32 v[18:19], s[14:15]
	v_add_nc_u64_e32 v[4:5], v[10:11], v[4:5]
	v_mov_b64_e32 v[16:17], s[12:13]
	v_dual_mov_b32 v14, v35 :: v_dual_mov_b32 v15, v35
	s_delay_alu instid0(VALU_DEP_3) | instskip(NEXT) | instid1(VALU_DEP_4)
	v_readfirstlane_b32 s6, v4
	v_readfirstlane_b32 s7, v5
	s_clause 0x3
	global_store_b128 v34, v[12:15], s[6:7]
	global_store_b128 v34, v[16:19], s[6:7] offset:16
	global_store_b128 v34, v[16:19], s[6:7] offset:32
	;; [unrolled: 1-line block ×3, first 2 shown]
	s_wait_xcnt 0x0
	s_and_saveexec_b32 s1, s0
	s_cbranch_execz .LBB14_209
; %bb.202:
	v_dual_mov_b32 v3, 0 :: v_dual_mov_b32 v15, s5
	s_mov_b32 s6, exec_lo
	s_clause 0x1
	global_load_b64 v[16:17], v3, s[2:3] offset:32 scope:SCOPE_SYS
	global_load_b64 v[10:11], v3, s[2:3] offset:40
	s_wait_loadcnt 0x0
	v_dual_mov_b32 v14, s4 :: v_dual_bitop2_b32 v11, s5, v11 bitop3:0x40
	v_and_b32_e32 v10, s4, v10
	s_delay_alu instid0(VALU_DEP_1) | instskip(NEXT) | instid1(VALU_DEP_1)
	v_mul_u64_e32 v[10:11], 24, v[10:11]
	v_add_nc_u64_e32 v[12:13], v[8:9], v[10:11]
	global_store_b64 v[12:13], v[16:17], off
	global_wb scope:SCOPE_SYS
	s_wait_storecnt 0x0
	s_wait_xcnt 0x0
	global_atomic_cmpswap_b64 v[10:11], v3, v[14:17], s[2:3] offset:32 th:TH_ATOMIC_RETURN scope:SCOPE_SYS
	s_wait_loadcnt 0x0
	v_cmpx_ne_u64_e64 v[10:11], v[16:17]
	s_cbranch_execz .LBB14_205
; %bb.203:
	s_mov_b32 s7, 0
.LBB14_204:                             ; =>This Inner Loop Header: Depth=1
	v_dual_mov_b32 v8, s4 :: v_dual_mov_b32 v9, s5
	s_sleep 1
	global_store_b64 v[12:13], v[10:11], off
	global_wb scope:SCOPE_SYS
	s_wait_storecnt 0x0
	s_wait_xcnt 0x0
	global_atomic_cmpswap_b64 v[8:9], v3, v[8:11], s[2:3] offset:32 th:TH_ATOMIC_RETURN scope:SCOPE_SYS
	s_wait_loadcnt 0x0
	v_cmp_eq_u64_e32 vcc_lo, v[8:9], v[10:11]
	v_mov_b64_e32 v[10:11], v[8:9]
	s_or_b32 s7, vcc_lo, s7
	s_delay_alu instid0(SALU_CYCLE_1)
	s_and_not1_b32 exec_lo, exec_lo, s7
	s_cbranch_execnz .LBB14_204
.LBB14_205:
	s_or_b32 exec_lo, exec_lo, s6
	v_mov_b32_e32 v11, 0
	s_mov_b32 s7, exec_lo
	s_mov_b32 s6, exec_lo
	v_mbcnt_lo_u32_b32 v3, s7, 0
	global_load_b64 v[8:9], v11, s[2:3] offset:16
	s_wait_xcnt 0x0
	v_cmpx_eq_u32_e32 0, v3
	s_cbranch_execz .LBB14_207
; %bb.206:
	s_bcnt1_i32_b32 s7, s7
	s_delay_alu instid0(SALU_CYCLE_1)
	v_mov_b32_e32 v10, s7
	global_wb scope:SCOPE_SYS
	s_wait_loadcnt 0x0
	s_wait_storecnt 0x0
	global_atomic_add_u64 v[8:9], v[10:11], off offset:8 scope:SCOPE_SYS
.LBB14_207:
	s_wait_xcnt 0x0
	s_or_b32 exec_lo, exec_lo, s6
	s_wait_loadcnt 0x0
	global_load_b64 v[10:11], v[8:9], off offset:16
	s_wait_loadcnt 0x0
	v_cmp_eq_u64_e32 vcc_lo, 0, v[10:11]
	s_cbranch_vccnz .LBB14_209
; %bb.208:
	global_load_b32 v8, v[8:9], off offset:24
	s_wait_xcnt 0x0
	v_mov_b32_e32 v9, 0
	s_wait_loadcnt 0x0
	v_readfirstlane_b32 s6, v8
	global_wb scope:SCOPE_SYS
	s_wait_storecnt 0x0
	global_store_b64 v[10:11], v[8:9], off scope:SCOPE_SYS
	s_and_b32 m0, s6, 0xffffff
	s_sendmsg sendmsg(MSG_INTERRUPT)
.LBB14_209:
	s_wait_xcnt 0x0
	s_or_b32 exec_lo, exec_lo, s1
	v_add_nc_u64_e32 v[4:5], v[4:5], v[34:35]
	s_branch .LBB14_213
.LBB14_210:                             ;   in Loop: Header=BB14_213 Depth=1
	s_wait_xcnt 0x0
	s_or_b32 exec_lo, exec_lo, s1
	s_delay_alu instid0(VALU_DEP_1)
	v_readfirstlane_b32 s1, v3
	s_cmp_eq_u32 s1, 0
	s_cbranch_scc1 .LBB14_212
; %bb.211:                              ;   in Loop: Header=BB14_213 Depth=1
	s_sleep 1
	s_cbranch_execnz .LBB14_213
	s_branch .LBB14_216
.LBB14_212:
	s_branch .LBB14_216
.LBB14_213:                             ; =>This Inner Loop Header: Depth=1
	v_mov_b32_e32 v3, 1
	s_and_saveexec_b32 s1, s0
	s_cbranch_execz .LBB14_210
; %bb.214:                              ;   in Loop: Header=BB14_213 Depth=1
	global_load_b32 v3, v[0:1], off offset:20 scope:SCOPE_SYS
	s_wait_loadcnt 0x0
	global_inv scope:SCOPE_SYS
	v_and_b32_e32 v3, 1, v3
	s_branch .LBB14_210
.LBB14_215:
	s_branch .LBB14_249
.LBB14_216:
	global_load_b64 v[8:9], v[4:5], off
	s_wait_xcnt 0x0
	s_and_saveexec_b32 s6, s0
	s_cbranch_execz .LBB14_220
; %bb.217:
	v_mov_b32_e32 v3, 0
	s_clause 0x2
	global_load_b64 v[0:1], v3, s[2:3] offset:40
	global_load_b64 v[14:15], v3, s[2:3] offset:24 scope:SCOPE_SYS
	global_load_b64 v[4:5], v3, s[2:3]
	s_wait_loadcnt 0x2
	v_readfirstlane_b32 s10, v0
	v_readfirstlane_b32 s11, v1
	s_add_nc_u64 s[0:1], s[10:11], 1
	s_delay_alu instid0(SALU_CYCLE_1) | instskip(NEXT) | instid1(SALU_CYCLE_1)
	s_add_nc_u64 s[4:5], s[0:1], s[4:5]
	s_cmp_eq_u64 s[4:5], 0
	s_cselect_b32 s1, s1, s5
	s_cselect_b32 s0, s0, s4
	v_mov_b32_e32 v13, s1
	s_and_b64 s[4:5], s[0:1], s[10:11]
	v_mov_b32_e32 v12, s0
	s_mul_u64 s[4:5], s[4:5], 24
	s_wait_loadcnt 0x0
	v_add_nc_u64_e32 v[0:1], s[4:5], v[4:5]
	global_store_b64 v[0:1], v[14:15], off
	global_wb scope:SCOPE_SYS
	s_wait_storecnt 0x0
	s_wait_xcnt 0x0
	global_atomic_cmpswap_b64 v[12:13], v3, v[12:15], s[2:3] offset:24 th:TH_ATOMIC_RETURN scope:SCOPE_SYS
	s_wait_loadcnt 0x0
	v_cmp_ne_u64_e32 vcc_lo, v[12:13], v[14:15]
	s_and_b32 exec_lo, exec_lo, vcc_lo
	s_cbranch_execz .LBB14_220
; %bb.218:
	s_mov_b32 s4, 0
.LBB14_219:                             ; =>This Inner Loop Header: Depth=1
	v_dual_mov_b32 v10, s0 :: v_dual_mov_b32 v11, s1
	s_sleep 1
	global_store_b64 v[0:1], v[12:13], off
	global_wb scope:SCOPE_SYS
	s_wait_storecnt 0x0
	s_wait_xcnt 0x0
	global_atomic_cmpswap_b64 v[4:5], v3, v[10:13], s[2:3] offset:24 th:TH_ATOMIC_RETURN scope:SCOPE_SYS
	s_wait_loadcnt 0x0
	v_cmp_eq_u64_e32 vcc_lo, v[4:5], v[12:13]
	v_mov_b64_e32 v[12:13], v[4:5]
	s_or_b32 s4, vcc_lo, s4
	s_delay_alu instid0(SALU_CYCLE_1)
	s_and_not1_b32 exec_lo, exec_lo, s4
	s_cbranch_execnz .LBB14_219
.LBB14_220:
	s_or_b32 exec_lo, exec_lo, s6
	s_get_pc_i64 s[4:5]
	s_add_nc_u64 s[4:5], s[4:5], .str.6@rel64+4
	s_delay_alu instid0(SALU_CYCLE_1)
	s_cmp_lg_u64 s[4:5], 0
	s_cbranch_scc1 .LBB14_115
.LBB14_221:
                                        ; implicit-def: $vgpr10_vgpr11
	s_cbranch_execz .LBB14_249
; %bb.222:
	v_readfirstlane_b32 s0, v52
	v_mov_b64_e32 v[0:1], 0
	s_delay_alu instid0(VALU_DEP_2)
	v_cmp_eq_u32_e64 s0, s0, v52
	s_and_saveexec_b32 s1, s0
	s_cbranch_execz .LBB14_228
; %bb.223:
	v_mov_b32_e32 v3, 0
	s_mov_b32 s4, exec_lo
	global_load_b64 v[12:13], v3, s[2:3] offset:24 scope:SCOPE_SYS
	s_wait_loadcnt 0x0
	global_inv scope:SCOPE_SYS
	s_clause 0x1
	global_load_b64 v[0:1], v3, s[2:3] offset:40
	global_load_b64 v[4:5], v3, s[2:3]
	s_wait_loadcnt 0x1
	v_and_b32_e32 v0, v0, v12
	v_and_b32_e32 v1, v1, v13
	s_delay_alu instid0(VALU_DEP_1) | instskip(SKIP_1) | instid1(VALU_DEP_1)
	v_mul_u64_e32 v[0:1], 24, v[0:1]
	s_wait_loadcnt 0x0
	v_add_nc_u64_e32 v[0:1], v[4:5], v[0:1]
	global_load_b64 v[10:11], v[0:1], off scope:SCOPE_SYS
	s_wait_xcnt 0x0
	s_wait_loadcnt 0x0
	global_atomic_cmpswap_b64 v[0:1], v3, v[10:13], s[2:3] offset:24 th:TH_ATOMIC_RETURN scope:SCOPE_SYS
	s_wait_loadcnt 0x0
	global_inv scope:SCOPE_SYS
	s_wait_xcnt 0x0
	v_cmpx_ne_u64_e64 v[0:1], v[12:13]
	s_cbranch_execz .LBB14_227
; %bb.224:
	s_mov_b32 s5, 0
.LBB14_225:                             ; =>This Inner Loop Header: Depth=1
	s_sleep 1
	s_clause 0x1
	global_load_b64 v[4:5], v3, s[2:3] offset:40
	global_load_b64 v[10:11], v3, s[2:3]
	v_mov_b64_e32 v[12:13], v[0:1]
	s_wait_loadcnt 0x1
	s_delay_alu instid0(VALU_DEP_1) | instskip(NEXT) | instid1(VALU_DEP_2)
	v_and_b32_e32 v0, v4, v12
	v_and_b32_e32 v4, v5, v13
	s_wait_loadcnt 0x0
	s_delay_alu instid0(VALU_DEP_2) | instskip(NEXT) | instid1(VALU_DEP_1)
	v_mad_nc_u64_u32 v[0:1], v0, 24, v[10:11]
	v_mad_u32 v1, v4, 24, v1
	global_load_b64 v[10:11], v[0:1], off scope:SCOPE_SYS
	s_wait_xcnt 0x0
	s_wait_loadcnt 0x0
	global_atomic_cmpswap_b64 v[0:1], v3, v[10:13], s[2:3] offset:24 th:TH_ATOMIC_RETURN scope:SCOPE_SYS
	s_wait_loadcnt 0x0
	global_inv scope:SCOPE_SYS
	v_cmp_eq_u64_e32 vcc_lo, v[0:1], v[12:13]
	s_or_b32 s5, vcc_lo, s5
	s_wait_xcnt 0x0
	s_and_not1_b32 exec_lo, exec_lo, s5
	s_cbranch_execnz .LBB14_225
; %bb.226:
	s_or_b32 exec_lo, exec_lo, s5
.LBB14_227:
	s_delay_alu instid0(SALU_CYCLE_1)
	s_or_b32 exec_lo, exec_lo, s4
.LBB14_228:
	s_delay_alu instid0(SALU_CYCLE_1)
	s_or_b32 exec_lo, exec_lo, s1
	v_readfirstlane_b32 s4, v0
	v_mov_b32_e32 v35, 0
	v_readfirstlane_b32 s5, v1
	s_mov_b32 s1, exec_lo
	s_clause 0x1
	global_load_b64 v[4:5], v35, s[2:3] offset:40
	global_load_b128 v[12:15], v35, s[2:3]
	s_wait_loadcnt 0x1
	v_and_b32_e32 v4, s4, v4
	v_and_b32_e32 v5, s5, v5
	s_delay_alu instid0(VALU_DEP_1) | instskip(SKIP_1) | instid1(VALU_DEP_1)
	v_mul_u64_e32 v[0:1], 24, v[4:5]
	s_wait_loadcnt 0x0
	v_add_nc_u64_e32 v[0:1], v[12:13], v[0:1]
	s_wait_xcnt 0x0
	s_and_saveexec_b32 s6, s0
	s_cbranch_execz .LBB14_230
; %bb.229:
	v_mov_b64_e32 v[18:19], 0x100000002
	v_dual_mov_b32 v16, s1 :: v_dual_mov_b32 v17, v35
	global_store_b128 v[0:1], v[16:19], off offset:8
.LBB14_230:
	s_wait_xcnt 0x0
	s_or_b32 exec_lo, exec_lo, s6
	v_lshlrev_b64_e32 v[4:5], 12, v[4:5]
	s_mov_b32 s12, 0
	v_and_or_b32 v8, 0xffffff1f, v8, 32
	s_mov_b32 s14, s12
	s_mov_b32 s15, s12
	;; [unrolled: 1-line block ×3, first 2 shown]
	v_dual_mov_b32 v10, v35 :: v_dual_mov_b32 v11, v35
	v_add_nc_u64_e32 v[4:5], v[14:15], v[4:5]
	v_mov_b64_e32 v[16:17], s[14:15]
	v_mov_b64_e32 v[14:15], s[12:13]
	s_delay_alu instid0(VALU_DEP_3) | instskip(NEXT) | instid1(VALU_DEP_4)
	v_readfirstlane_b32 s6, v4
	v_readfirstlane_b32 s7, v5
	s_clause 0x3
	global_store_b128 v34, v[8:11], s[6:7]
	global_store_b128 v34, v[14:17], s[6:7] offset:16
	global_store_b128 v34, v[14:17], s[6:7] offset:32
	;; [unrolled: 1-line block ×3, first 2 shown]
	s_wait_xcnt 0x0
	s_and_saveexec_b32 s1, s0
	s_cbranch_execz .LBB14_238
; %bb.231:
	v_dual_mov_b32 v3, 0 :: v_dual_mov_b32 v15, s5
	s_mov_b32 s6, exec_lo
	s_clause 0x1
	global_load_b64 v[16:17], v3, s[2:3] offset:32 scope:SCOPE_SYS
	global_load_b64 v[8:9], v3, s[2:3] offset:40
	s_wait_loadcnt 0x0
	v_dual_mov_b32 v14, s4 :: v_dual_bitop2_b32 v9, s5, v9 bitop3:0x40
	v_and_b32_e32 v8, s4, v8
	s_delay_alu instid0(VALU_DEP_1) | instskip(NEXT) | instid1(VALU_DEP_1)
	v_mul_u64_e32 v[8:9], 24, v[8:9]
	v_add_nc_u64_e32 v[12:13], v[12:13], v[8:9]
	global_store_b64 v[12:13], v[16:17], off
	global_wb scope:SCOPE_SYS
	s_wait_storecnt 0x0
	s_wait_xcnt 0x0
	global_atomic_cmpswap_b64 v[10:11], v3, v[14:17], s[2:3] offset:32 th:TH_ATOMIC_RETURN scope:SCOPE_SYS
	s_wait_loadcnt 0x0
	v_cmpx_ne_u64_e64 v[10:11], v[16:17]
	s_cbranch_execz .LBB14_234
; %bb.232:
	s_mov_b32 s7, 0
.LBB14_233:                             ; =>This Inner Loop Header: Depth=1
	v_dual_mov_b32 v8, s4 :: v_dual_mov_b32 v9, s5
	s_sleep 1
	global_store_b64 v[12:13], v[10:11], off
	global_wb scope:SCOPE_SYS
	s_wait_storecnt 0x0
	s_wait_xcnt 0x0
	global_atomic_cmpswap_b64 v[8:9], v3, v[8:11], s[2:3] offset:32 th:TH_ATOMIC_RETURN scope:SCOPE_SYS
	s_wait_loadcnt 0x0
	v_cmp_eq_u64_e32 vcc_lo, v[8:9], v[10:11]
	v_mov_b64_e32 v[10:11], v[8:9]
	s_or_b32 s7, vcc_lo, s7
	s_delay_alu instid0(SALU_CYCLE_1)
	s_and_not1_b32 exec_lo, exec_lo, s7
	s_cbranch_execnz .LBB14_233
.LBB14_234:
	s_or_b32 exec_lo, exec_lo, s6
	v_mov_b32_e32 v11, 0
	s_mov_b32 s7, exec_lo
	s_mov_b32 s6, exec_lo
	v_mbcnt_lo_u32_b32 v3, s7, 0
	global_load_b64 v[8:9], v11, s[2:3] offset:16
	s_wait_xcnt 0x0
	v_cmpx_eq_u32_e32 0, v3
	s_cbranch_execz .LBB14_236
; %bb.235:
	s_bcnt1_i32_b32 s7, s7
	s_delay_alu instid0(SALU_CYCLE_1)
	v_mov_b32_e32 v10, s7
	global_wb scope:SCOPE_SYS
	s_wait_loadcnt 0x0
	s_wait_storecnt 0x0
	global_atomic_add_u64 v[8:9], v[10:11], off offset:8 scope:SCOPE_SYS
.LBB14_236:
	s_wait_xcnt 0x0
	s_or_b32 exec_lo, exec_lo, s6
	s_wait_loadcnt 0x0
	global_load_b64 v[10:11], v[8:9], off offset:16
	s_wait_loadcnt 0x0
	v_cmp_eq_u64_e32 vcc_lo, 0, v[10:11]
	s_cbranch_vccnz .LBB14_238
; %bb.237:
	global_load_b32 v8, v[8:9], off offset:24
	s_wait_xcnt 0x0
	v_mov_b32_e32 v9, 0
	s_wait_loadcnt 0x0
	v_readfirstlane_b32 s6, v8
	global_wb scope:SCOPE_SYS
	s_wait_storecnt 0x0
	global_store_b64 v[10:11], v[8:9], off scope:SCOPE_SYS
	s_and_b32 m0, s6, 0xffffff
	s_sendmsg sendmsg(MSG_INTERRUPT)
.LBB14_238:
	s_wait_xcnt 0x0
	s_or_b32 exec_lo, exec_lo, s1
	v_add_nc_u64_e32 v[4:5], v[4:5], v[34:35]
	s_branch .LBB14_242
.LBB14_239:                             ;   in Loop: Header=BB14_242 Depth=1
	s_wait_xcnt 0x0
	s_or_b32 exec_lo, exec_lo, s1
	s_delay_alu instid0(VALU_DEP_1)
	v_readfirstlane_b32 s1, v3
	s_cmp_eq_u32 s1, 0
	s_cbranch_scc1 .LBB14_241
; %bb.240:                              ;   in Loop: Header=BB14_242 Depth=1
	s_sleep 1
	s_cbranch_execnz .LBB14_242
	s_branch .LBB14_244
.LBB14_241:
	s_branch .LBB14_244
.LBB14_242:                             ; =>This Inner Loop Header: Depth=1
	v_mov_b32_e32 v3, 1
	s_and_saveexec_b32 s1, s0
	s_cbranch_execz .LBB14_239
; %bb.243:                              ;   in Loop: Header=BB14_242 Depth=1
	global_load_b32 v3, v[0:1], off offset:20 scope:SCOPE_SYS
	s_wait_loadcnt 0x0
	global_inv scope:SCOPE_SYS
	v_and_b32_e32 v3, 1, v3
	s_branch .LBB14_239
.LBB14_244:
	global_load_b64 v[10:11], v[4:5], off
	s_wait_xcnt 0x0
	s_and_saveexec_b32 s6, s0
	s_cbranch_execz .LBB14_248
; %bb.245:
	v_mov_b32_e32 v3, 0
	s_clause 0x2
	global_load_b64 v[0:1], v3, s[2:3] offset:40
	global_load_b64 v[16:17], v3, s[2:3] offset:24 scope:SCOPE_SYS
	global_load_b64 v[4:5], v3, s[2:3]
	s_wait_loadcnt 0x2
	v_readfirstlane_b32 s10, v0
	v_readfirstlane_b32 s11, v1
	s_add_nc_u64 s[0:1], s[10:11], 1
	s_delay_alu instid0(SALU_CYCLE_1) | instskip(NEXT) | instid1(SALU_CYCLE_1)
	s_add_nc_u64 s[4:5], s[0:1], s[4:5]
	s_cmp_eq_u64 s[4:5], 0
	s_cselect_b32 s1, s1, s5
	s_cselect_b32 s0, s0, s4
	v_mov_b32_e32 v15, s1
	s_and_b64 s[4:5], s[0:1], s[10:11]
	v_mov_b32_e32 v14, s0
	s_mul_u64 s[4:5], s[4:5], 24
	s_wait_loadcnt 0x0
	v_add_nc_u64_e32 v[0:1], s[4:5], v[4:5]
	global_store_b64 v[0:1], v[16:17], off
	global_wb scope:SCOPE_SYS
	s_wait_storecnt 0x0
	s_wait_xcnt 0x0
	global_atomic_cmpswap_b64 v[14:15], v3, v[14:17], s[2:3] offset:24 th:TH_ATOMIC_RETURN scope:SCOPE_SYS
	s_wait_loadcnt 0x0
	v_cmp_ne_u64_e32 vcc_lo, v[14:15], v[16:17]
	s_and_b32 exec_lo, exec_lo, vcc_lo
	s_cbranch_execz .LBB14_248
; %bb.246:
	s_mov_b32 s4, 0
.LBB14_247:                             ; =>This Inner Loop Header: Depth=1
	v_dual_mov_b32 v12, s0 :: v_dual_mov_b32 v13, s1
	s_sleep 1
	global_store_b64 v[0:1], v[14:15], off
	global_wb scope:SCOPE_SYS
	s_wait_storecnt 0x0
	s_wait_xcnt 0x0
	global_atomic_cmpswap_b64 v[4:5], v3, v[12:15], s[2:3] offset:24 th:TH_ATOMIC_RETURN scope:SCOPE_SYS
	s_wait_loadcnt 0x0
	v_cmp_eq_u64_e32 vcc_lo, v[4:5], v[14:15]
	v_mov_b64_e32 v[14:15], v[4:5]
	s_or_b32 s4, vcc_lo, s4
	s_delay_alu instid0(SALU_CYCLE_1)
	s_and_not1_b32 exec_lo, exec_lo, s4
	s_cbranch_execnz .LBB14_247
.LBB14_248:
	s_or_b32 exec_lo, exec_lo, s6
.LBB14_249:
	v_readfirstlane_b32 s0, v52
	v_mov_b64_e32 v[0:1], 0
	s_delay_alu instid0(VALU_DEP_2)
	v_cmp_eq_u32_e64 s0, s0, v52
	s_and_saveexec_b32 s1, s0
	s_cbranch_execz .LBB14_255
; %bb.250:
	v_mov_b32_e32 v3, 0
	s_mov_b32 s4, exec_lo
	global_load_b64 v[14:15], v3, s[2:3] offset:24 scope:SCOPE_SYS
	s_wait_loadcnt 0x0
	global_inv scope:SCOPE_SYS
	s_clause 0x1
	global_load_b64 v[0:1], v3, s[2:3] offset:40
	global_load_b64 v[4:5], v3, s[2:3]
	s_wait_loadcnt 0x1
	v_and_b32_e32 v0, v0, v14
	v_and_b32_e32 v1, v1, v15
	s_delay_alu instid0(VALU_DEP_1) | instskip(SKIP_1) | instid1(VALU_DEP_1)
	v_mul_u64_e32 v[0:1], 24, v[0:1]
	s_wait_loadcnt 0x0
	v_add_nc_u64_e32 v[0:1], v[4:5], v[0:1]
	global_load_b64 v[12:13], v[0:1], off scope:SCOPE_SYS
	s_wait_xcnt 0x0
	s_wait_loadcnt 0x0
	global_atomic_cmpswap_b64 v[0:1], v3, v[12:15], s[2:3] offset:24 th:TH_ATOMIC_RETURN scope:SCOPE_SYS
	s_wait_loadcnt 0x0
	global_inv scope:SCOPE_SYS
	s_wait_xcnt 0x0
	v_cmpx_ne_u64_e64 v[0:1], v[14:15]
	s_cbranch_execz .LBB14_254
; %bb.251:
	s_mov_b32 s5, 0
.LBB14_252:                             ; =>This Inner Loop Header: Depth=1
	s_sleep 1
	s_clause 0x1
	global_load_b64 v[4:5], v3, s[2:3] offset:40
	global_load_b64 v[8:9], v3, s[2:3]
	v_mov_b64_e32 v[14:15], v[0:1]
	s_wait_loadcnt 0x1
	s_delay_alu instid0(VALU_DEP_1) | instskip(NEXT) | instid1(VALU_DEP_2)
	v_and_b32_e32 v0, v4, v14
	v_and_b32_e32 v4, v5, v15
	s_wait_loadcnt 0x0
	s_delay_alu instid0(VALU_DEP_2) | instskip(NEXT) | instid1(VALU_DEP_1)
	v_mad_nc_u64_u32 v[0:1], v0, 24, v[8:9]
	v_mad_u32 v1, v4, 24, v1
	global_load_b64 v[12:13], v[0:1], off scope:SCOPE_SYS
	s_wait_xcnt 0x0
	s_wait_loadcnt 0x0
	global_atomic_cmpswap_b64 v[0:1], v3, v[12:15], s[2:3] offset:24 th:TH_ATOMIC_RETURN scope:SCOPE_SYS
	s_wait_loadcnt 0x0
	global_inv scope:SCOPE_SYS
	v_cmp_eq_u64_e32 vcc_lo, v[0:1], v[14:15]
	s_or_b32 s5, vcc_lo, s5
	s_wait_xcnt 0x0
	s_and_not1_b32 exec_lo, exec_lo, s5
	s_cbranch_execnz .LBB14_252
; %bb.253:
	s_or_b32 exec_lo, exec_lo, s5
.LBB14_254:
	s_delay_alu instid0(SALU_CYCLE_1)
	s_or_b32 exec_lo, exec_lo, s4
.LBB14_255:
	s_delay_alu instid0(SALU_CYCLE_1)
	s_or_b32 exec_lo, exec_lo, s1
	v_readfirstlane_b32 s4, v0
	v_mov_b32_e32 v35, 0
	v_readfirstlane_b32 s5, v1
	s_mov_b32 s1, exec_lo
	s_clause 0x1
	global_load_b64 v[4:5], v35, s[2:3] offset:40
	global_load_b128 v[14:17], v35, s[2:3]
	s_wait_loadcnt 0x1
	v_and_b32_e32 v0, s4, v4
	v_and_b32_e32 v1, s5, v5
	s_delay_alu instid0(VALU_DEP_1) | instskip(SKIP_1) | instid1(VALU_DEP_1)
	v_mul_u64_e32 v[4:5], 24, v[0:1]
	s_wait_loadcnt 0x0
	v_add_nc_u64_e32 v[4:5], v[14:15], v[4:5]
	s_wait_xcnt 0x0
	s_and_saveexec_b32 s6, s0
	s_cbranch_execz .LBB14_257
; %bb.256:
	v_mov_b64_e32 v[20:21], 0x100000002
	v_dual_mov_b32 v18, s1 :: v_dual_mov_b32 v19, v35
	global_store_b128 v[4:5], v[18:21], off offset:8
.LBB14_257:
	s_wait_xcnt 0x0
	s_or_b32 exec_lo, exec_lo, s6
	v_lshlrev_b64_e32 v[0:1], 12, v[0:1]
	s_mov_b32 s12, 0
	v_dual_mov_b32 v12, v2 :: v_dual_mov_b32 v13, v35
	s_mov_b32 s13, s12
	s_mov_b32 s14, s12
	;; [unrolled: 1-line block ×3, first 2 shown]
	s_delay_alu instid0(VALU_DEP_2) | instskip(SKIP_3) | instid1(VALU_DEP_4)
	v_add_nc_u64_e32 v[8:9], v[16:17], v[0:1]
	v_mov_b64_e32 v[0:1], s[12:13]
	v_mov_b64_e32 v[2:3], s[14:15]
	v_and_or_b32 v10, 0xffffff1f, v10, 32
	v_readfirstlane_b32 s6, v8
	v_readfirstlane_b32 s7, v9
	s_clause 0x3
	global_store_b128 v34, v[10:13], s[6:7]
	global_store_b128 v34, v[0:3], s[6:7] offset:16
	global_store_b128 v34, v[0:3], s[6:7] offset:32
	;; [unrolled: 1-line block ×3, first 2 shown]
	s_wait_xcnt 0x0
	s_and_saveexec_b32 s1, s0
	s_cbranch_execz .LBB14_265
; %bb.258:
	v_mov_b32_e32 v12, 0
	s_mov_b32 s6, exec_lo
	s_clause 0x1
	global_load_b64 v[16:17], v12, s[2:3] offset:32 scope:SCOPE_SYS
	global_load_b64 v[0:1], v12, s[2:3] offset:40
	s_wait_loadcnt 0x0
	v_and_b32_e32 v0, s4, v0
	v_and_b32_e32 v1, s5, v1
	s_delay_alu instid0(VALU_DEP_1) | instskip(NEXT) | instid1(VALU_DEP_1)
	v_mul_u64_e32 v[0:1], 24, v[0:1]
	v_add_nc_u64_e32 v[10:11], v[14:15], v[0:1]
	v_dual_mov_b32 v14, s4 :: v_dual_mov_b32 v15, s5
	global_store_b64 v[10:11], v[16:17], off
	global_wb scope:SCOPE_SYS
	s_wait_storecnt 0x0
	s_wait_xcnt 0x0
	global_atomic_cmpswap_b64 v[2:3], v12, v[14:17], s[2:3] offset:32 th:TH_ATOMIC_RETURN scope:SCOPE_SYS
	s_wait_loadcnt 0x0
	v_cmpx_ne_u64_e64 v[2:3], v[16:17]
	s_cbranch_execz .LBB14_261
; %bb.259:
	s_mov_b32 s7, 0
.LBB14_260:                             ; =>This Inner Loop Header: Depth=1
	v_dual_mov_b32 v0, s4 :: v_dual_mov_b32 v1, s5
	s_sleep 1
	global_store_b64 v[10:11], v[2:3], off
	global_wb scope:SCOPE_SYS
	s_wait_storecnt 0x0
	s_wait_xcnt 0x0
	global_atomic_cmpswap_b64 v[0:1], v12, v[0:3], s[2:3] offset:32 th:TH_ATOMIC_RETURN scope:SCOPE_SYS
	s_wait_loadcnt 0x0
	v_cmp_eq_u64_e32 vcc_lo, v[0:1], v[2:3]
	v_mov_b64_e32 v[2:3], v[0:1]
	s_or_b32 s7, vcc_lo, s7
	s_delay_alu instid0(SALU_CYCLE_1)
	s_and_not1_b32 exec_lo, exec_lo, s7
	s_cbranch_execnz .LBB14_260
.LBB14_261:
	s_or_b32 exec_lo, exec_lo, s6
	v_mov_b32_e32 v3, 0
	s_mov_b32 s7, exec_lo
	s_mov_b32 s6, exec_lo
	v_mbcnt_lo_u32_b32 v2, s7, 0
	global_load_b64 v[0:1], v3, s[2:3] offset:16
	s_wait_xcnt 0x0
	v_cmpx_eq_u32_e32 0, v2
	s_cbranch_execz .LBB14_263
; %bb.262:
	s_bcnt1_i32_b32 s7, s7
	s_delay_alu instid0(SALU_CYCLE_1)
	v_mov_b32_e32 v2, s7
	global_wb scope:SCOPE_SYS
	s_wait_loadcnt 0x0
	s_wait_storecnt 0x0
	global_atomic_add_u64 v[0:1], v[2:3], off offset:8 scope:SCOPE_SYS
.LBB14_263:
	s_wait_xcnt 0x0
	s_or_b32 exec_lo, exec_lo, s6
	s_wait_loadcnt 0x0
	global_load_b64 v[2:3], v[0:1], off offset:16
	s_wait_loadcnt 0x0
	v_cmp_eq_u64_e32 vcc_lo, 0, v[2:3]
	s_cbranch_vccnz .LBB14_265
; %bb.264:
	global_load_b32 v0, v[0:1], off offset:24
	s_wait_xcnt 0x0
	v_mov_b32_e32 v1, 0
	s_wait_loadcnt 0x0
	v_readfirstlane_b32 s6, v0
	global_wb scope:SCOPE_SYS
	s_wait_storecnt 0x0
	global_store_b64 v[2:3], v[0:1], off scope:SCOPE_SYS
	s_and_b32 m0, s6, 0xffffff
	s_sendmsg sendmsg(MSG_INTERRUPT)
.LBB14_265:
	s_wait_xcnt 0x0
	s_or_b32 exec_lo, exec_lo, s1
	v_add_nc_u64_e32 v[0:1], v[8:9], v[34:35]
	s_branch .LBB14_269
.LBB14_266:                             ;   in Loop: Header=BB14_269 Depth=1
	s_wait_xcnt 0x0
	s_or_b32 exec_lo, exec_lo, s1
	s_delay_alu instid0(VALU_DEP_1)
	v_readfirstlane_b32 s1, v2
	s_cmp_eq_u32 s1, 0
	s_cbranch_scc1 .LBB14_268
; %bb.267:                              ;   in Loop: Header=BB14_269 Depth=1
	s_sleep 1
	s_cbranch_execnz .LBB14_269
	s_branch .LBB14_271
.LBB14_268:
	s_branch .LBB14_271
.LBB14_269:                             ; =>This Inner Loop Header: Depth=1
	v_mov_b32_e32 v2, 1
	s_and_saveexec_b32 s1, s0
	s_cbranch_execz .LBB14_266
; %bb.270:                              ;   in Loop: Header=BB14_269 Depth=1
	global_load_b32 v2, v[4:5], off offset:20 scope:SCOPE_SYS
	s_wait_loadcnt 0x0
	global_inv scope:SCOPE_SYS
	v_and_b32_e32 v2, 1, v2
	s_branch .LBB14_266
.LBB14_271:
	global_load_b64 v[0:1], v[0:1], off
	s_wait_xcnt 0x0
	s_and_saveexec_b32 s6, s0
	s_cbranch_execz .LBB14_275
; %bb.272:
	v_mov_b32_e32 v10, 0
	s_clause 0x2
	global_load_b64 v[2:3], v10, s[2:3] offset:40
	global_load_b64 v[14:15], v10, s[2:3] offset:24 scope:SCOPE_SYS
	global_load_b64 v[4:5], v10, s[2:3]
	s_wait_loadcnt 0x2
	v_readfirstlane_b32 s10, v2
	v_readfirstlane_b32 s11, v3
	s_add_nc_u64 s[0:1], s[10:11], 1
	s_delay_alu instid0(SALU_CYCLE_1) | instskip(NEXT) | instid1(SALU_CYCLE_1)
	s_add_nc_u64 s[4:5], s[0:1], s[4:5]
	s_cmp_eq_u64 s[4:5], 0
	s_cselect_b32 s1, s1, s5
	s_cselect_b32 s0, s0, s4
	v_mov_b32_e32 v13, s1
	s_and_b64 s[4:5], s[0:1], s[10:11]
	v_mov_b32_e32 v12, s0
	s_mul_u64 s[4:5], s[4:5], 24
	s_wait_loadcnt 0x0
	v_add_nc_u64_e32 v[8:9], s[4:5], v[4:5]
	global_store_b64 v[8:9], v[14:15], off
	global_wb scope:SCOPE_SYS
	s_wait_storecnt 0x0
	s_wait_xcnt 0x0
	global_atomic_cmpswap_b64 v[4:5], v10, v[12:15], s[2:3] offset:24 th:TH_ATOMIC_RETURN scope:SCOPE_SYS
	s_wait_loadcnt 0x0
	v_cmp_ne_u64_e32 vcc_lo, v[4:5], v[14:15]
	s_and_b32 exec_lo, exec_lo, vcc_lo
	s_cbranch_execz .LBB14_275
; %bb.273:
	s_mov_b32 s4, 0
.LBB14_274:                             ; =>This Inner Loop Header: Depth=1
	v_dual_mov_b32 v2, s0 :: v_dual_mov_b32 v3, s1
	s_sleep 1
	global_store_b64 v[8:9], v[4:5], off
	global_wb scope:SCOPE_SYS
	s_wait_storecnt 0x0
	s_wait_xcnt 0x0
	global_atomic_cmpswap_b64 v[2:3], v10, v[2:5], s[2:3] offset:24 th:TH_ATOMIC_RETURN scope:SCOPE_SYS
	s_wait_loadcnt 0x0
	v_cmp_eq_u64_e32 vcc_lo, v[2:3], v[4:5]
	v_mov_b64_e32 v[4:5], v[2:3]
	s_or_b32 s4, vcc_lo, s4
	s_delay_alu instid0(SALU_CYCLE_1)
	s_and_not1_b32 exec_lo, exec_lo, s4
	s_cbranch_execnz .LBB14_274
.LBB14_275:
	s_or_b32 exec_lo, exec_lo, s6
	v_mov_b64_e32 v[2:3], v[36:37]
	s_mov_b32 s0, 0
.LBB14_276:                             ; =>This Inner Loop Header: Depth=1
	global_load_u8 v4, v[2:3], off
	s_wait_xcnt 0x0
	v_add_nc_u64_e32 v[2:3], 1, v[2:3]
	s_wait_loadcnt 0x0
	v_cmp_eq_u16_e32 vcc_lo, 0, v4
	s_or_b32 s0, vcc_lo, s0
	s_delay_alu instid0(SALU_CYCLE_1)
	s_and_not1_b32 exec_lo, exec_lo, s0
	s_cbranch_execnz .LBB14_276
; %bb.277:
	s_or_b32 exec_lo, exec_lo, s0
	s_delay_alu instid0(SALU_CYCLE_1)
	s_mov_b32 s0, exec_lo
	v_cmpx_ne_u64_e32 0, v[36:37]
	s_xor_b32 s6, exec_lo, s0
	s_cbranch_execz .LBB14_363
; %bb.278:
	v_dual_mov_b32 v35, 0 :: v_dual_sub_nc_u32 v28, v2, v36
	v_mov_b64_e32 v[10:11], 0x100000002
	v_and_b32_e32 v30, 2, v0
	v_and_b32_e32 v0, -3, v0
	s_delay_alu instid0(VALU_DEP_4)
	v_ashrrev_i32_e32 v29, 31, v28
	s_mov_b32 s10, 0
	s_mov_b32 s7, 0
	s_branch .LBB14_280
.LBB14_279:                             ;   in Loop: Header=BB14_280 Depth=1
	s_or_b32 exec_lo, exec_lo, s11
	v_sub_nc_u64_e32 v[28:29], v[28:29], v[32:33]
	v_add_nc_u64_e32 v[36:37], v[36:37], v[32:33]
	s_delay_alu instid0(VALU_DEP_2) | instskip(SKIP_1) | instid1(SALU_CYCLE_1)
	v_cmp_eq_u64_e32 vcc_lo, 0, v[28:29]
	s_or_b32 s7, vcc_lo, s7
	s_and_not1_b32 exec_lo, exec_lo, s7
	s_cbranch_execz .LBB14_362
.LBB14_280:                             ; =>This Loop Header: Depth=1
                                        ;     Child Loop BB14_283 Depth 2
                                        ;     Child Loop BB14_291 Depth 2
	;; [unrolled: 1-line block ×11, first 2 shown]
	s_delay_alu instid0(VALU_DEP_1) | instskip(NEXT) | instid1(VALU_DEP_3)
	v_min_u64 v[32:33], v[28:29], 56
	v_add_nc_u64_e32 v[8:9], 8, v[36:37]
	s_mov_b32 s0, exec_lo
	v_cmpx_gt_u64_e32 8, v[28:29]
	s_xor_b32 s4, exec_lo, s0
	s_cbranch_execz .LBB14_286
; %bb.281:                              ;   in Loop: Header=BB14_280 Depth=1
	v_mov_b64_e32 v[2:3], 0
	s_mov_b32 s5, exec_lo
	v_cmpx_ne_u64_e32 0, v[28:29]
	s_cbranch_execz .LBB14_285
; %bb.282:                              ;   in Loop: Header=BB14_280 Depth=1
	v_mov_b64_e32 v[2:3], 0
	v_mov_b64_e32 v[8:9], v[36:37]
	v_lshlrev_b32_e32 v4, 3, v32
	s_mov_b64 s[0:1], 0
	s_mov_b32 s11, 0
.LBB14_283:                             ;   Parent Loop BB14_280 Depth=1
                                        ; =>  This Inner Loop Header: Depth=2
	global_load_u8 v5, v[8:9], off
	v_mov_b32_e32 v13, s10
	s_wait_xcnt 0x0
	v_add_nc_u64_e32 v[8:9], 1, v[8:9]
	s_wait_loadcnt 0x0
	v_and_b32_e32 v12, 0xffff, v5
	s_delay_alu instid0(VALU_DEP_1) | instskip(SKIP_1) | instid1(SALU_CYCLE_1)
	v_lshlrev_b64_e32 v[12:13], s0, v[12:13]
	s_add_nc_u64 s[0:1], s[0:1], 8
	v_cmp_eq_u32_e32 vcc_lo, s0, v4
	s_delay_alu instid0(VALU_DEP_2) | instskip(NEXT) | instid1(VALU_DEP_3)
	v_or_b32_e32 v3, v13, v3
	v_or_b32_e32 v2, v12, v2
	s_or_b32 s11, vcc_lo, s11
	s_delay_alu instid0(SALU_CYCLE_1)
	s_and_not1_b32 exec_lo, exec_lo, s11
	s_cbranch_execnz .LBB14_283
; %bb.284:                              ;   in Loop: Header=BB14_280 Depth=1
	s_or_b32 exec_lo, exec_lo, s11
.LBB14_285:                             ;   in Loop: Header=BB14_280 Depth=1
	s_delay_alu instid0(SALU_CYCLE_1)
	s_or_b32 exec_lo, exec_lo, s5
	v_mov_b64_e32 v[8:9], v[36:37]
.LBB14_286:                             ;   in Loop: Header=BB14_280 Depth=1
	s_or_saveexec_b32 s0, s4
	v_mov_b32_e32 v14, 0
	s_xor_b32 exec_lo, exec_lo, s0
	s_cbranch_execz .LBB14_288
; %bb.287:                              ;   in Loop: Header=BB14_280 Depth=1
	global_load_b64 v[2:3], v[36:37], off
	v_add_nc_u32_e32 v14, -8, v32
.LBB14_288:                             ;   in Loop: Header=BB14_280 Depth=1
	s_wait_xcnt 0x0
	s_or_b32 exec_lo, exec_lo, s0
	v_add_nc_u64_e32 v[4:5], 8, v[8:9]
                                        ; implicit-def: $vgpr12_vgpr13
	s_mov_b32 s0, exec_lo
	v_cmpx_gt_u32_e32 8, v14
	s_xor_b32 s11, exec_lo, s0
	s_cbranch_execz .LBB14_294
; %bb.289:                              ;   in Loop: Header=BB14_280 Depth=1
	v_mov_b64_e32 v[12:13], 0
	s_mov_b32 s12, exec_lo
	v_cmpx_ne_u32_e32 0, v14
	s_cbranch_execz .LBB14_293
; %bb.290:                              ;   in Loop: Header=BB14_280 Depth=1
	v_mov_b64_e32 v[12:13], 0
	s_mov_b64 s[0:1], 0
	s_mov_b32 s13, 0
	s_mov_b64 s[4:5], 0
.LBB14_291:                             ;   Parent Loop BB14_280 Depth=1
                                        ; =>  This Inner Loop Header: Depth=2
	s_delay_alu instid0(SALU_CYCLE_1) | instskip(SKIP_1) | instid1(SALU_CYCLE_1)
	v_add_nc_u64_e32 v[4:5], s[4:5], v[8:9]
	s_add_nc_u64 s[4:5], s[4:5], 1
	v_cmp_eq_u32_e32 vcc_lo, s4, v14
	global_load_u8 v4, v[4:5], off
	s_wait_xcnt 0x0
	v_mov_b32_e32 v5, s10
	s_or_b32 s13, vcc_lo, s13
	s_wait_loadcnt 0x0
	v_and_b32_e32 v4, 0xffff, v4
	s_delay_alu instid0(VALU_DEP_1) | instskip(SKIP_1) | instid1(VALU_DEP_1)
	v_lshlrev_b64_e32 v[4:5], s0, v[4:5]
	s_add_nc_u64 s[0:1], s[0:1], 8
	v_or_b32_e32 v13, v5, v13
	s_delay_alu instid0(VALU_DEP_2)
	v_or_b32_e32 v12, v4, v12
	s_and_not1_b32 exec_lo, exec_lo, s13
	s_cbranch_execnz .LBB14_291
; %bb.292:                              ;   in Loop: Header=BB14_280 Depth=1
	s_or_b32 exec_lo, exec_lo, s13
.LBB14_293:                             ;   in Loop: Header=BB14_280 Depth=1
	s_delay_alu instid0(SALU_CYCLE_1)
	s_or_b32 exec_lo, exec_lo, s12
	v_mov_b64_e32 v[4:5], v[8:9]
                                        ; implicit-def: $vgpr14
.LBB14_294:                             ;   in Loop: Header=BB14_280 Depth=1
	s_or_saveexec_b32 s0, s11
	v_mov_b32_e32 v16, 0
	s_xor_b32 exec_lo, exec_lo, s0
	s_cbranch_execz .LBB14_296
; %bb.295:                              ;   in Loop: Header=BB14_280 Depth=1
	global_load_b64 v[12:13], v[8:9], off
	v_add_nc_u32_e32 v16, -8, v14
.LBB14_296:                             ;   in Loop: Header=BB14_280 Depth=1
	s_wait_xcnt 0x0
	s_or_b32 exec_lo, exec_lo, s0
	v_add_nc_u64_e32 v[8:9], 8, v[4:5]
	s_mov_b32 s0, exec_lo
	v_cmpx_gt_u32_e32 8, v16
	s_xor_b32 s11, exec_lo, s0
	s_cbranch_execz .LBB14_302
; %bb.297:                              ;   in Loop: Header=BB14_280 Depth=1
	v_mov_b64_e32 v[14:15], 0
	s_mov_b32 s12, exec_lo
	v_cmpx_ne_u32_e32 0, v16
	s_cbranch_execz .LBB14_301
; %bb.298:                              ;   in Loop: Header=BB14_280 Depth=1
	v_mov_b64_e32 v[14:15], 0
	s_mov_b64 s[0:1], 0
	s_mov_b32 s13, 0
	s_mov_b64 s[4:5], 0
.LBB14_299:                             ;   Parent Loop BB14_280 Depth=1
                                        ; =>  This Inner Loop Header: Depth=2
	s_delay_alu instid0(SALU_CYCLE_1) | instskip(SKIP_1) | instid1(SALU_CYCLE_1)
	v_add_nc_u64_e32 v[8:9], s[4:5], v[4:5]
	s_add_nc_u64 s[4:5], s[4:5], 1
	v_cmp_eq_u32_e32 vcc_lo, s4, v16
	global_load_u8 v8, v[8:9], off
	s_wait_xcnt 0x0
	v_mov_b32_e32 v9, s10
	s_or_b32 s13, vcc_lo, s13
	s_wait_loadcnt 0x0
	v_and_b32_e32 v8, 0xffff, v8
	s_delay_alu instid0(VALU_DEP_1) | instskip(SKIP_1) | instid1(VALU_DEP_1)
	v_lshlrev_b64_e32 v[8:9], s0, v[8:9]
	s_add_nc_u64 s[0:1], s[0:1], 8
	v_or_b32_e32 v15, v9, v15
	s_delay_alu instid0(VALU_DEP_2)
	v_or_b32_e32 v14, v8, v14
	s_and_not1_b32 exec_lo, exec_lo, s13
	s_cbranch_execnz .LBB14_299
; %bb.300:                              ;   in Loop: Header=BB14_280 Depth=1
	s_or_b32 exec_lo, exec_lo, s13
.LBB14_301:                             ;   in Loop: Header=BB14_280 Depth=1
	s_delay_alu instid0(SALU_CYCLE_1)
	s_or_b32 exec_lo, exec_lo, s12
	v_mov_b64_e32 v[8:9], v[4:5]
                                        ; implicit-def: $vgpr16
.LBB14_302:                             ;   in Loop: Header=BB14_280 Depth=1
	s_or_saveexec_b32 s0, s11
	v_mov_b32_e32 v18, 0
	s_xor_b32 exec_lo, exec_lo, s0
	s_cbranch_execz .LBB14_304
; %bb.303:                              ;   in Loop: Header=BB14_280 Depth=1
	global_load_b64 v[14:15], v[4:5], off
	v_add_nc_u32_e32 v18, -8, v16
.LBB14_304:                             ;   in Loop: Header=BB14_280 Depth=1
	s_wait_xcnt 0x0
	s_or_b32 exec_lo, exec_lo, s0
	v_add_nc_u64_e32 v[4:5], 8, v[8:9]
                                        ; implicit-def: $vgpr16_vgpr17
	s_mov_b32 s0, exec_lo
	v_cmpx_gt_u32_e32 8, v18
	s_xor_b32 s11, exec_lo, s0
	s_cbranch_execz .LBB14_310
; %bb.305:                              ;   in Loop: Header=BB14_280 Depth=1
	v_mov_b64_e32 v[16:17], 0
	s_mov_b32 s12, exec_lo
	v_cmpx_ne_u32_e32 0, v18
	s_cbranch_execz .LBB14_309
; %bb.306:                              ;   in Loop: Header=BB14_280 Depth=1
	v_mov_b64_e32 v[16:17], 0
	s_mov_b64 s[0:1], 0
	s_mov_b32 s13, 0
	s_mov_b64 s[4:5], 0
.LBB14_307:                             ;   Parent Loop BB14_280 Depth=1
                                        ; =>  This Inner Loop Header: Depth=2
	s_delay_alu instid0(SALU_CYCLE_1) | instskip(SKIP_1) | instid1(SALU_CYCLE_1)
	v_add_nc_u64_e32 v[4:5], s[4:5], v[8:9]
	s_add_nc_u64 s[4:5], s[4:5], 1
	v_cmp_eq_u32_e32 vcc_lo, s4, v18
	global_load_u8 v4, v[4:5], off
	s_wait_xcnt 0x0
	v_mov_b32_e32 v5, s10
	s_or_b32 s13, vcc_lo, s13
	s_wait_loadcnt 0x0
	v_and_b32_e32 v4, 0xffff, v4
	s_delay_alu instid0(VALU_DEP_1) | instskip(SKIP_1) | instid1(VALU_DEP_1)
	v_lshlrev_b64_e32 v[4:5], s0, v[4:5]
	s_add_nc_u64 s[0:1], s[0:1], 8
	v_or_b32_e32 v17, v5, v17
	s_delay_alu instid0(VALU_DEP_2)
	v_or_b32_e32 v16, v4, v16
	s_and_not1_b32 exec_lo, exec_lo, s13
	s_cbranch_execnz .LBB14_307
; %bb.308:                              ;   in Loop: Header=BB14_280 Depth=1
	s_or_b32 exec_lo, exec_lo, s13
.LBB14_309:                             ;   in Loop: Header=BB14_280 Depth=1
	s_delay_alu instid0(SALU_CYCLE_1)
	s_or_b32 exec_lo, exec_lo, s12
	v_mov_b64_e32 v[4:5], v[8:9]
                                        ; implicit-def: $vgpr18
.LBB14_310:                             ;   in Loop: Header=BB14_280 Depth=1
	s_or_saveexec_b32 s0, s11
	v_mov_b32_e32 v20, 0
	s_xor_b32 exec_lo, exec_lo, s0
	s_cbranch_execz .LBB14_312
; %bb.311:                              ;   in Loop: Header=BB14_280 Depth=1
	global_load_b64 v[16:17], v[8:9], off
	v_add_nc_u32_e32 v20, -8, v18
.LBB14_312:                             ;   in Loop: Header=BB14_280 Depth=1
	s_wait_xcnt 0x0
	s_or_b32 exec_lo, exec_lo, s0
	v_add_nc_u64_e32 v[8:9], 8, v[4:5]
	s_mov_b32 s0, exec_lo
	v_cmpx_gt_u32_e32 8, v20
	s_xor_b32 s11, exec_lo, s0
	s_cbranch_execz .LBB14_318
; %bb.313:                              ;   in Loop: Header=BB14_280 Depth=1
	v_mov_b64_e32 v[18:19], 0
	s_mov_b32 s12, exec_lo
	v_cmpx_ne_u32_e32 0, v20
	s_cbranch_execz .LBB14_317
; %bb.314:                              ;   in Loop: Header=BB14_280 Depth=1
	v_mov_b64_e32 v[18:19], 0
	s_mov_b64 s[0:1], 0
	s_mov_b32 s13, 0
	s_mov_b64 s[4:5], 0
.LBB14_315:                             ;   Parent Loop BB14_280 Depth=1
                                        ; =>  This Inner Loop Header: Depth=2
	s_delay_alu instid0(SALU_CYCLE_1) | instskip(SKIP_1) | instid1(SALU_CYCLE_1)
	v_add_nc_u64_e32 v[8:9], s[4:5], v[4:5]
	s_add_nc_u64 s[4:5], s[4:5], 1
	v_cmp_eq_u32_e32 vcc_lo, s4, v20
	global_load_u8 v8, v[8:9], off
	s_wait_xcnt 0x0
	v_mov_b32_e32 v9, s10
	s_or_b32 s13, vcc_lo, s13
	s_wait_loadcnt 0x0
	v_and_b32_e32 v8, 0xffff, v8
	s_delay_alu instid0(VALU_DEP_1) | instskip(SKIP_1) | instid1(VALU_DEP_1)
	v_lshlrev_b64_e32 v[8:9], s0, v[8:9]
	s_add_nc_u64 s[0:1], s[0:1], 8
	v_or_b32_e32 v19, v9, v19
	s_delay_alu instid0(VALU_DEP_2)
	v_or_b32_e32 v18, v8, v18
	s_and_not1_b32 exec_lo, exec_lo, s13
	s_cbranch_execnz .LBB14_315
; %bb.316:                              ;   in Loop: Header=BB14_280 Depth=1
	s_or_b32 exec_lo, exec_lo, s13
.LBB14_317:                             ;   in Loop: Header=BB14_280 Depth=1
	s_delay_alu instid0(SALU_CYCLE_1)
	s_or_b32 exec_lo, exec_lo, s12
	v_mov_b64_e32 v[8:9], v[4:5]
                                        ; implicit-def: $vgpr20
.LBB14_318:                             ;   in Loop: Header=BB14_280 Depth=1
	s_or_saveexec_b32 s0, s11
	v_mov_b32_e32 v22, 0
	s_xor_b32 exec_lo, exec_lo, s0
	s_cbranch_execz .LBB14_320
; %bb.319:                              ;   in Loop: Header=BB14_280 Depth=1
	global_load_b64 v[18:19], v[4:5], off
	v_add_nc_u32_e32 v22, -8, v20
.LBB14_320:                             ;   in Loop: Header=BB14_280 Depth=1
	s_wait_xcnt 0x0
	s_or_b32 exec_lo, exec_lo, s0
	v_add_nc_u64_e32 v[4:5], 8, v[8:9]
                                        ; implicit-def: $vgpr20_vgpr21
	s_mov_b32 s0, exec_lo
	v_cmpx_gt_u32_e32 8, v22
	s_xor_b32 s11, exec_lo, s0
	s_cbranch_execz .LBB14_326
; %bb.321:                              ;   in Loop: Header=BB14_280 Depth=1
	v_mov_b64_e32 v[20:21], 0
	s_mov_b32 s12, exec_lo
	v_cmpx_ne_u32_e32 0, v22
	s_cbranch_execz .LBB14_325
; %bb.322:                              ;   in Loop: Header=BB14_280 Depth=1
	v_mov_b64_e32 v[20:21], 0
	s_mov_b64 s[0:1], 0
	s_mov_b32 s13, 0
	s_mov_b64 s[4:5], 0
.LBB14_323:                             ;   Parent Loop BB14_280 Depth=1
                                        ; =>  This Inner Loop Header: Depth=2
	s_delay_alu instid0(SALU_CYCLE_1) | instskip(SKIP_1) | instid1(SALU_CYCLE_1)
	v_add_nc_u64_e32 v[4:5], s[4:5], v[8:9]
	s_add_nc_u64 s[4:5], s[4:5], 1
	v_cmp_eq_u32_e32 vcc_lo, s4, v22
	global_load_u8 v4, v[4:5], off
	s_wait_xcnt 0x0
	v_mov_b32_e32 v5, s10
	s_or_b32 s13, vcc_lo, s13
	s_wait_loadcnt 0x0
	v_and_b32_e32 v4, 0xffff, v4
	s_delay_alu instid0(VALU_DEP_1) | instskip(SKIP_1) | instid1(VALU_DEP_1)
	v_lshlrev_b64_e32 v[4:5], s0, v[4:5]
	s_add_nc_u64 s[0:1], s[0:1], 8
	v_or_b32_e32 v21, v5, v21
	s_delay_alu instid0(VALU_DEP_2)
	v_or_b32_e32 v20, v4, v20
	s_and_not1_b32 exec_lo, exec_lo, s13
	s_cbranch_execnz .LBB14_323
; %bb.324:                              ;   in Loop: Header=BB14_280 Depth=1
	s_or_b32 exec_lo, exec_lo, s13
.LBB14_325:                             ;   in Loop: Header=BB14_280 Depth=1
	s_delay_alu instid0(SALU_CYCLE_1)
	s_or_b32 exec_lo, exec_lo, s12
	v_mov_b64_e32 v[4:5], v[8:9]
                                        ; implicit-def: $vgpr22
.LBB14_326:                             ;   in Loop: Header=BB14_280 Depth=1
	s_or_saveexec_b32 s0, s11
	v_mov_b32_e32 v24, 0
	s_xor_b32 exec_lo, exec_lo, s0
	s_cbranch_execz .LBB14_328
; %bb.327:                              ;   in Loop: Header=BB14_280 Depth=1
	global_load_b64 v[20:21], v[8:9], off
	v_add_nc_u32_e32 v24, -8, v22
.LBB14_328:                             ;   in Loop: Header=BB14_280 Depth=1
	s_wait_xcnt 0x0
	s_or_b32 exec_lo, exec_lo, s0
	s_delay_alu instid0(SALU_CYCLE_1) | instskip(NEXT) | instid1(VALU_DEP_1)
	s_mov_b32 s0, exec_lo
	v_cmpx_gt_u32_e32 8, v24
	s_xor_b32 s4, exec_lo, s0
	s_cbranch_execz .LBB14_334
; %bb.329:                              ;   in Loop: Header=BB14_280 Depth=1
	v_mov_b64_e32 v[22:23], 0
	s_mov_b32 s5, exec_lo
	v_cmpx_ne_u32_e32 0, v24
	s_cbranch_execz .LBB14_333
; %bb.330:                              ;   in Loop: Header=BB14_280 Depth=1
	v_mov_b64_e32 v[22:23], 0
	s_mov_b64 s[0:1], 0
	s_mov_b32 s11, 0
.LBB14_331:                             ;   Parent Loop BB14_280 Depth=1
                                        ; =>  This Inner Loop Header: Depth=2
	global_load_u8 v8, v[4:5], off
	v_dual_mov_b32 v9, s10 :: v_dual_add_nc_u32 v24, -1, v24
	s_wait_xcnt 0x0
	v_add_nc_u64_e32 v[4:5], 1, v[4:5]
	s_delay_alu instid0(VALU_DEP_2) | instskip(SKIP_3) | instid1(VALU_DEP_1)
	v_cmp_eq_u32_e32 vcc_lo, 0, v24
	s_or_b32 s11, vcc_lo, s11
	s_wait_loadcnt 0x0
	v_and_b32_e32 v8, 0xffff, v8
	v_lshlrev_b64_e32 v[8:9], s0, v[8:9]
	s_add_nc_u64 s[0:1], s[0:1], 8
	s_delay_alu instid0(VALU_DEP_1) | instskip(NEXT) | instid1(VALU_DEP_2)
	v_or_b32_e32 v23, v9, v23
	v_or_b32_e32 v22, v8, v22
	s_and_not1_b32 exec_lo, exec_lo, s11
	s_cbranch_execnz .LBB14_331
; %bb.332:                              ;   in Loop: Header=BB14_280 Depth=1
	s_or_b32 exec_lo, exec_lo, s11
.LBB14_333:                             ;   in Loop: Header=BB14_280 Depth=1
	s_delay_alu instid0(SALU_CYCLE_1)
	s_or_b32 exec_lo, exec_lo, s5
                                        ; implicit-def: $vgpr4_vgpr5
.LBB14_334:                             ;   in Loop: Header=BB14_280 Depth=1
	s_and_not1_saveexec_b32 s0, s4
	s_cbranch_execz .LBB14_336
; %bb.335:                              ;   in Loop: Header=BB14_280 Depth=1
	global_load_b64 v[22:23], v[4:5], off
.LBB14_336:                             ;   in Loop: Header=BB14_280 Depth=1
	s_wait_xcnt 0x0
	s_or_b32 exec_lo, exec_lo, s0
	v_readfirstlane_b32 s0, v52
	v_mov_b64_e32 v[4:5], 0
	s_delay_alu instid0(VALU_DEP_2)
	v_cmp_eq_u32_e64 s0, s0, v52
	s_and_saveexec_b32 s1, s0
	s_cbranch_execz .LBB14_342
; %bb.337:                              ;   in Loop: Header=BB14_280 Depth=1
	global_load_b64 v[26:27], v35, s[2:3] offset:24 scope:SCOPE_SYS
	s_wait_loadcnt 0x0
	global_inv scope:SCOPE_SYS
	s_clause 0x1
	global_load_b64 v[4:5], v35, s[2:3] offset:40
	global_load_b64 v[8:9], v35, s[2:3]
	s_mov_b32 s4, exec_lo
	s_wait_loadcnt 0x1
	v_and_b32_e32 v4, v4, v26
	v_and_b32_e32 v5, v5, v27
	s_delay_alu instid0(VALU_DEP_1) | instskip(SKIP_1) | instid1(VALU_DEP_1)
	v_mul_u64_e32 v[4:5], 24, v[4:5]
	s_wait_loadcnt 0x0
	v_add_nc_u64_e32 v[4:5], v[8:9], v[4:5]
	global_load_b64 v[24:25], v[4:5], off scope:SCOPE_SYS
	s_wait_xcnt 0x0
	s_wait_loadcnt 0x0
	global_atomic_cmpswap_b64 v[4:5], v35, v[24:27], s[2:3] offset:24 th:TH_ATOMIC_RETURN scope:SCOPE_SYS
	s_wait_loadcnt 0x0
	global_inv scope:SCOPE_SYS
	s_wait_xcnt 0x0
	v_cmpx_ne_u64_e64 v[4:5], v[26:27]
	s_cbranch_execz .LBB14_341
; %bb.338:                              ;   in Loop: Header=BB14_280 Depth=1
	s_mov_b32 s5, 0
.LBB14_339:                             ;   Parent Loop BB14_280 Depth=1
                                        ; =>  This Inner Loop Header: Depth=2
	s_sleep 1
	s_clause 0x1
	global_load_b64 v[8:9], v35, s[2:3] offset:40
	global_load_b64 v[24:25], v35, s[2:3]
	v_mov_b64_e32 v[26:27], v[4:5]
	s_wait_loadcnt 0x1
	s_delay_alu instid0(VALU_DEP_1) | instskip(NEXT) | instid1(VALU_DEP_2)
	v_and_b32_e32 v4, v8, v26
	v_and_b32_e32 v8, v9, v27
	s_wait_loadcnt 0x0
	s_delay_alu instid0(VALU_DEP_2) | instskip(NEXT) | instid1(VALU_DEP_1)
	v_mad_nc_u64_u32 v[4:5], v4, 24, v[24:25]
	v_mad_u32 v5, v8, 24, v5
	global_load_b64 v[24:25], v[4:5], off scope:SCOPE_SYS
	s_wait_xcnt 0x0
	s_wait_loadcnt 0x0
	global_atomic_cmpswap_b64 v[4:5], v35, v[24:27], s[2:3] offset:24 th:TH_ATOMIC_RETURN scope:SCOPE_SYS
	s_wait_loadcnt 0x0
	global_inv scope:SCOPE_SYS
	v_cmp_eq_u64_e32 vcc_lo, v[4:5], v[26:27]
	s_or_b32 s5, vcc_lo, s5
	s_wait_xcnt 0x0
	s_and_not1_b32 exec_lo, exec_lo, s5
	s_cbranch_execnz .LBB14_339
; %bb.340:                              ;   in Loop: Header=BB14_280 Depth=1
	s_or_b32 exec_lo, exec_lo, s5
.LBB14_341:                             ;   in Loop: Header=BB14_280 Depth=1
	s_delay_alu instid0(SALU_CYCLE_1)
	s_or_b32 exec_lo, exec_lo, s4
.LBB14_342:                             ;   in Loop: Header=BB14_280 Depth=1
	s_delay_alu instid0(SALU_CYCLE_1)
	s_or_b32 exec_lo, exec_lo, s1
	s_clause 0x1
	global_load_b64 v[8:9], v35, s[2:3] offset:40
	global_load_b128 v[24:27], v35, s[2:3]
	v_readfirstlane_b32 s4, v4
	v_readfirstlane_b32 s5, v5
	s_mov_b32 s1, exec_lo
	s_wait_loadcnt 0x1
	v_and_b32_e32 v38, s4, v8
	v_and_b32_e32 v39, s5, v9
	s_delay_alu instid0(VALU_DEP_1) | instskip(SKIP_1) | instid1(VALU_DEP_1)
	v_mul_u64_e32 v[4:5], 24, v[38:39]
	s_wait_loadcnt 0x0
	v_add_nc_u64_e32 v[4:5], v[24:25], v[4:5]
	s_wait_xcnt 0x0
	s_and_saveexec_b32 s11, s0
	s_cbranch_execz .LBB14_344
; %bb.343:                              ;   in Loop: Header=BB14_280 Depth=1
	v_dual_mov_b32 v8, s1 :: v_dual_mov_b32 v9, v35
	global_store_b128 v[4:5], v[8:11], off offset:8
.LBB14_344:                             ;   in Loop: Header=BB14_280 Depth=1
	s_wait_xcnt 0x0
	s_or_b32 exec_lo, exec_lo, s11
	v_cmp_gt_u64_e32 vcc_lo, 57, v[28:29]
	v_lshlrev_b64_e32 v[8:9], 12, v[38:39]
	v_and_b32_e32 v0, 0xffffff1f, v0
	v_lshl_add_u32 v38, v32, 2, 28
	v_cndmask_b32_e32 v31, 0, v30, vcc_lo
	s_delay_alu instid0(VALU_DEP_4) | instskip(NEXT) | instid1(VALU_DEP_2)
	v_add_nc_u64_e32 v[8:9], v[26:27], v[8:9]
	v_or_b32_e32 v0, v0, v31
	s_delay_alu instid0(VALU_DEP_2) | instskip(NEXT) | instid1(VALU_DEP_3)
	v_readfirstlane_b32 s12, v8
	v_readfirstlane_b32 s13, v9
	s_delay_alu instid0(VALU_DEP_3)
	v_and_or_b32 v0, 0x1e0, v38, v0
	s_clause 0x3
	global_store_b128 v34, v[0:3], s[12:13]
	global_store_b128 v34, v[12:15], s[12:13] offset:16
	global_store_b128 v34, v[16:19], s[12:13] offset:32
	;; [unrolled: 1-line block ×3, first 2 shown]
	s_wait_xcnt 0x0
	s_and_saveexec_b32 s1, s0
	s_cbranch_execz .LBB14_352
; %bb.345:                              ;   in Loop: Header=BB14_280 Depth=1
	s_clause 0x1
	global_load_b64 v[16:17], v35, s[2:3] offset:32 scope:SCOPE_SYS
	global_load_b64 v[0:1], v35, s[2:3] offset:40
	s_mov_b32 s11, exec_lo
	v_dual_mov_b32 v14, s4 :: v_dual_mov_b32 v15, s5
	s_wait_loadcnt 0x0
	v_and_b32_e32 v1, s5, v1
	v_and_b32_e32 v0, s4, v0
	s_delay_alu instid0(VALU_DEP_1) | instskip(NEXT) | instid1(VALU_DEP_1)
	v_mul_u64_e32 v[0:1], 24, v[0:1]
	v_add_nc_u64_e32 v[12:13], v[24:25], v[0:1]
	global_store_b64 v[12:13], v[16:17], off
	global_wb scope:SCOPE_SYS
	s_wait_storecnt 0x0
	s_wait_xcnt 0x0
	global_atomic_cmpswap_b64 v[2:3], v35, v[14:17], s[2:3] offset:32 th:TH_ATOMIC_RETURN scope:SCOPE_SYS
	s_wait_loadcnt 0x0
	v_cmpx_ne_u64_e64 v[2:3], v[16:17]
	s_cbranch_execz .LBB14_348
; %bb.346:                              ;   in Loop: Header=BB14_280 Depth=1
	s_mov_b32 s12, 0
.LBB14_347:                             ;   Parent Loop BB14_280 Depth=1
                                        ; =>  This Inner Loop Header: Depth=2
	v_dual_mov_b32 v0, s4 :: v_dual_mov_b32 v1, s5
	s_sleep 1
	global_store_b64 v[12:13], v[2:3], off
	global_wb scope:SCOPE_SYS
	s_wait_storecnt 0x0
	s_wait_xcnt 0x0
	global_atomic_cmpswap_b64 v[0:1], v35, v[0:3], s[2:3] offset:32 th:TH_ATOMIC_RETURN scope:SCOPE_SYS
	s_wait_loadcnt 0x0
	v_cmp_eq_u64_e32 vcc_lo, v[0:1], v[2:3]
	v_mov_b64_e32 v[2:3], v[0:1]
	s_or_b32 s12, vcc_lo, s12
	s_delay_alu instid0(SALU_CYCLE_1)
	s_and_not1_b32 exec_lo, exec_lo, s12
	s_cbranch_execnz .LBB14_347
.LBB14_348:                             ;   in Loop: Header=BB14_280 Depth=1
	s_or_b32 exec_lo, exec_lo, s11
	global_load_b64 v[0:1], v35, s[2:3] offset:16
	s_mov_b32 s12, exec_lo
	s_mov_b32 s11, exec_lo
	v_mbcnt_lo_u32_b32 v2, s12, 0
	s_wait_xcnt 0x0
	s_delay_alu instid0(VALU_DEP_1)
	v_cmpx_eq_u32_e32 0, v2
	s_cbranch_execz .LBB14_350
; %bb.349:                              ;   in Loop: Header=BB14_280 Depth=1
	s_bcnt1_i32_b32 s12, s12
	s_delay_alu instid0(SALU_CYCLE_1)
	v_dual_mov_b32 v3, v35 :: v_dual_mov_b32 v2, s12
	global_wb scope:SCOPE_SYS
	s_wait_loadcnt 0x0
	s_wait_storecnt 0x0
	global_atomic_add_u64 v[0:1], v[2:3], off offset:8 scope:SCOPE_SYS
.LBB14_350:                             ;   in Loop: Header=BB14_280 Depth=1
	s_wait_xcnt 0x0
	s_or_b32 exec_lo, exec_lo, s11
	s_wait_loadcnt 0x0
	global_load_b64 v[2:3], v[0:1], off offset:16
	s_wait_loadcnt 0x0
	v_cmp_eq_u64_e32 vcc_lo, 0, v[2:3]
	s_cbranch_vccnz .LBB14_352
; %bb.351:                              ;   in Loop: Header=BB14_280 Depth=1
	global_load_b32 v0, v[0:1], off offset:24
	s_wait_xcnt 0x0
	v_mov_b32_e32 v1, v35
	s_wait_loadcnt 0x0
	v_readfirstlane_b32 s11, v0
	global_wb scope:SCOPE_SYS
	s_wait_storecnt 0x0
	global_store_b64 v[2:3], v[0:1], off scope:SCOPE_SYS
	s_and_b32 m0, s11, 0xffffff
	s_sendmsg sendmsg(MSG_INTERRUPT)
.LBB14_352:                             ;   in Loop: Header=BB14_280 Depth=1
	s_wait_xcnt 0x0
	s_or_b32 exec_lo, exec_lo, s1
	v_add_nc_u64_e32 v[0:1], v[8:9], v[34:35]
	s_branch .LBB14_356
.LBB14_353:                             ;   in Loop: Header=BB14_356 Depth=2
	s_wait_xcnt 0x0
	s_or_b32 exec_lo, exec_lo, s1
	s_delay_alu instid0(VALU_DEP_1)
	v_readfirstlane_b32 s1, v2
	s_cmp_eq_u32 s1, 0
	s_cbranch_scc1 .LBB14_355
; %bb.354:                              ;   in Loop: Header=BB14_356 Depth=2
	s_sleep 1
	s_cbranch_execnz .LBB14_356
	s_branch .LBB14_358
.LBB14_355:                             ;   in Loop: Header=BB14_280 Depth=1
	s_branch .LBB14_358
.LBB14_356:                             ;   Parent Loop BB14_280 Depth=1
                                        ; =>  This Inner Loop Header: Depth=2
	v_mov_b32_e32 v2, 1
	s_and_saveexec_b32 s1, s0
	s_cbranch_execz .LBB14_353
; %bb.357:                              ;   in Loop: Header=BB14_356 Depth=2
	global_load_b32 v2, v[4:5], off offset:20 scope:SCOPE_SYS
	s_wait_loadcnt 0x0
	global_inv scope:SCOPE_SYS
	v_and_b32_e32 v2, 1, v2
	s_branch .LBB14_353
.LBB14_358:                             ;   in Loop: Header=BB14_280 Depth=1
	global_load_b64 v[0:1], v[0:1], off
	s_wait_xcnt 0x0
	s_and_saveexec_b32 s11, s0
	s_cbranch_execz .LBB14_279
; %bb.359:                              ;   in Loop: Header=BB14_280 Depth=1
	s_clause 0x2
	global_load_b64 v[2:3], v35, s[2:3] offset:40
	global_load_b64 v[14:15], v35, s[2:3] offset:24 scope:SCOPE_SYS
	global_load_b64 v[4:5], v35, s[2:3]
	s_wait_loadcnt 0x2
	v_readfirstlane_b32 s12, v2
	v_readfirstlane_b32 s13, v3
	s_add_nc_u64 s[0:1], s[12:13], 1
	s_delay_alu instid0(SALU_CYCLE_1) | instskip(NEXT) | instid1(SALU_CYCLE_1)
	s_add_nc_u64 s[4:5], s[0:1], s[4:5]
	s_cmp_eq_u64 s[4:5], 0
	s_cselect_b32 s1, s1, s5
	s_cselect_b32 s0, s0, s4
	s_delay_alu instid0(SALU_CYCLE_1) | instskip(SKIP_1) | instid1(SALU_CYCLE_1)
	v_dual_mov_b32 v13, s1 :: v_dual_mov_b32 v12, s0
	s_and_b64 s[4:5], s[0:1], s[12:13]
	s_mul_u64 s[4:5], s[4:5], 24
	s_wait_loadcnt 0x0
	v_add_nc_u64_e32 v[8:9], s[4:5], v[4:5]
	global_store_b64 v[8:9], v[14:15], off
	global_wb scope:SCOPE_SYS
	s_wait_storecnt 0x0
	s_wait_xcnt 0x0
	global_atomic_cmpswap_b64 v[4:5], v35, v[12:15], s[2:3] offset:24 th:TH_ATOMIC_RETURN scope:SCOPE_SYS
	s_wait_loadcnt 0x0
	v_cmp_ne_u64_e32 vcc_lo, v[4:5], v[14:15]
	s_and_b32 exec_lo, exec_lo, vcc_lo
	s_cbranch_execz .LBB14_279
; %bb.360:                              ;   in Loop: Header=BB14_280 Depth=1
	s_mov_b32 s4, 0
.LBB14_361:                             ;   Parent Loop BB14_280 Depth=1
                                        ; =>  This Inner Loop Header: Depth=2
	v_dual_mov_b32 v2, s0 :: v_dual_mov_b32 v3, s1
	s_sleep 1
	global_store_b64 v[8:9], v[4:5], off
	global_wb scope:SCOPE_SYS
	s_wait_storecnt 0x0
	s_wait_xcnt 0x0
	global_atomic_cmpswap_b64 v[2:3], v35, v[2:5], s[2:3] offset:24 th:TH_ATOMIC_RETURN scope:SCOPE_SYS
	s_wait_loadcnt 0x0
	v_cmp_eq_u64_e32 vcc_lo, v[2:3], v[4:5]
	v_mov_b64_e32 v[4:5], v[2:3]
	s_or_b32 s4, vcc_lo, s4
	s_delay_alu instid0(SALU_CYCLE_1)
	s_and_not1_b32 exec_lo, exec_lo, s4
	s_cbranch_execnz .LBB14_361
	s_branch .LBB14_279
.LBB14_362:
	s_or_b32 exec_lo, exec_lo, s7
                                        ; implicit-def: $vgpr34
                                        ; implicit-def: $vgpr52
.LBB14_363:
	s_and_not1_saveexec_b32 s6, s6
	s_cbranch_execz .LBB14_391
; %bb.364:
	v_readfirstlane_b32 s0, v52
	v_mov_b64_e32 v[2:3], 0
	s_delay_alu instid0(VALU_DEP_2)
	v_cmp_eq_u32_e64 s0, s0, v52
	s_and_saveexec_b32 s1, s0
	s_cbranch_execz .LBB14_370
; %bb.365:
	v_mov_b32_e32 v4, 0
	s_mov_b32 s4, exec_lo
	global_load_b64 v[10:11], v4, s[2:3] offset:24 scope:SCOPE_SYS
	s_wait_loadcnt 0x0
	global_inv scope:SCOPE_SYS
	s_clause 0x1
	global_load_b64 v[2:3], v4, s[2:3] offset:40
	global_load_b64 v[8:9], v4, s[2:3]
	s_wait_loadcnt 0x1
	v_and_b32_e32 v2, v2, v10
	v_and_b32_e32 v3, v3, v11
	s_delay_alu instid0(VALU_DEP_1) | instskip(SKIP_1) | instid1(VALU_DEP_1)
	v_mul_u64_e32 v[2:3], 24, v[2:3]
	s_wait_loadcnt 0x0
	v_add_nc_u64_e32 v[2:3], v[8:9], v[2:3]
	global_load_b64 v[8:9], v[2:3], off scope:SCOPE_SYS
	s_wait_xcnt 0x0
	s_wait_loadcnt 0x0
	global_atomic_cmpswap_b64 v[2:3], v4, v[8:11], s[2:3] offset:24 th:TH_ATOMIC_RETURN scope:SCOPE_SYS
	s_wait_loadcnt 0x0
	global_inv scope:SCOPE_SYS
	s_wait_xcnt 0x0
	v_cmpx_ne_u64_e64 v[2:3], v[10:11]
	s_cbranch_execz .LBB14_369
; %bb.366:
	s_mov_b32 s5, 0
.LBB14_367:                             ; =>This Inner Loop Header: Depth=1
	s_sleep 1
	s_clause 0x1
	global_load_b64 v[8:9], v4, s[2:3] offset:40
	global_load_b64 v[12:13], v4, s[2:3]
	v_mov_b64_e32 v[10:11], v[2:3]
	s_wait_loadcnt 0x1
	s_delay_alu instid0(VALU_DEP_1) | instskip(NEXT) | instid1(VALU_DEP_2)
	v_and_b32_e32 v2, v8, v10
	v_and_b32_e32 v5, v9, v11
	s_wait_loadcnt 0x0
	s_delay_alu instid0(VALU_DEP_2) | instskip(NEXT) | instid1(VALU_DEP_1)
	v_mad_nc_u64_u32 v[2:3], v2, 24, v[12:13]
	v_mad_u32 v3, v5, 24, v3
	global_load_b64 v[8:9], v[2:3], off scope:SCOPE_SYS
	s_wait_xcnt 0x0
	s_wait_loadcnt 0x0
	global_atomic_cmpswap_b64 v[2:3], v4, v[8:11], s[2:3] offset:24 th:TH_ATOMIC_RETURN scope:SCOPE_SYS
	s_wait_loadcnt 0x0
	global_inv scope:SCOPE_SYS
	v_cmp_eq_u64_e32 vcc_lo, v[2:3], v[10:11]
	s_or_b32 s5, vcc_lo, s5
	s_wait_xcnt 0x0
	s_and_not1_b32 exec_lo, exec_lo, s5
	s_cbranch_execnz .LBB14_367
; %bb.368:
	s_or_b32 exec_lo, exec_lo, s5
.LBB14_369:
	s_delay_alu instid0(SALU_CYCLE_1)
	s_or_b32 exec_lo, exec_lo, s4
.LBB14_370:
	s_delay_alu instid0(SALU_CYCLE_1)
	s_or_b32 exec_lo, exec_lo, s1
	v_readfirstlane_b32 s4, v2
	v_mov_b32_e32 v35, 0
	v_readfirstlane_b32 s5, v3
	s_mov_b32 s1, exec_lo
	s_clause 0x1
	global_load_b64 v[4:5], v35, s[2:3] offset:40
	global_load_b128 v[8:11], v35, s[2:3]
	s_wait_loadcnt 0x1
	v_and_b32_e32 v2, s4, v4
	v_and_b32_e32 v3, s5, v5
	s_delay_alu instid0(VALU_DEP_1) | instskip(SKIP_1) | instid1(VALU_DEP_1)
	v_mul_u64_e32 v[4:5], 24, v[2:3]
	s_wait_loadcnt 0x0
	v_add_nc_u64_e32 v[4:5], v[8:9], v[4:5]
	s_wait_xcnt 0x0
	s_and_saveexec_b32 s7, s0
	s_cbranch_execz .LBB14_372
; %bb.371:
	v_mov_b64_e32 v[14:15], 0x100000002
	v_dual_mov_b32 v12, s1 :: v_dual_mov_b32 v13, v35
	global_store_b128 v[4:5], v[12:15], off offset:8
.LBB14_372:
	s_wait_xcnt 0x0
	s_or_b32 exec_lo, exec_lo, s7
	v_lshlrev_b64_e32 v[2:3], 12, v[2:3]
	s_mov_b32 s12, 0
	v_and_or_b32 v0, 0xffffff1f, v0, 32
	s_mov_b32 s13, s12
	s_mov_b32 s14, s12
	s_mov_b32 s15, s12
	v_mov_b64_e32 v[12:13], s[12:13]
	v_add_nc_u64_e32 v[10:11], v[10:11], v[2:3]
	v_mov_b64_e32 v[14:15], s[14:15]
	v_dual_mov_b32 v2, v35 :: v_dual_mov_b32 v3, v35
	s_delay_alu instid0(VALU_DEP_3) | instskip(NEXT) | instid1(VALU_DEP_4)
	v_readfirstlane_b32 s10, v10
	v_readfirstlane_b32 s11, v11
	s_clause 0x3
	global_store_b128 v34, v[0:3], s[10:11]
	global_store_b128 v34, v[12:15], s[10:11] offset:16
	global_store_b128 v34, v[12:15], s[10:11] offset:32
	;; [unrolled: 1-line block ×3, first 2 shown]
	s_wait_xcnt 0x0
	s_and_saveexec_b32 s1, s0
	s_cbranch_execz .LBB14_380
; %bb.373:
	v_dual_mov_b32 v12, 0 :: v_dual_mov_b32 v15, s5
	s_mov_b32 s7, exec_lo
	s_clause 0x1
	global_load_b64 v[16:17], v12, s[2:3] offset:32 scope:SCOPE_SYS
	global_load_b64 v[0:1], v12, s[2:3] offset:40
	s_wait_loadcnt 0x0
	v_dual_mov_b32 v14, s4 :: v_dual_bitop2_b32 v1, s5, v1 bitop3:0x40
	v_and_b32_e32 v0, s4, v0
	s_delay_alu instid0(VALU_DEP_1) | instskip(NEXT) | instid1(VALU_DEP_1)
	v_mul_u64_e32 v[0:1], 24, v[0:1]
	v_add_nc_u64_e32 v[8:9], v[8:9], v[0:1]
	global_store_b64 v[8:9], v[16:17], off
	global_wb scope:SCOPE_SYS
	s_wait_storecnt 0x0
	s_wait_xcnt 0x0
	global_atomic_cmpswap_b64 v[2:3], v12, v[14:17], s[2:3] offset:32 th:TH_ATOMIC_RETURN scope:SCOPE_SYS
	s_wait_loadcnt 0x0
	v_cmpx_ne_u64_e64 v[2:3], v[16:17]
	s_cbranch_execz .LBB14_376
; %bb.374:
	s_mov_b32 s10, 0
.LBB14_375:                             ; =>This Inner Loop Header: Depth=1
	v_dual_mov_b32 v0, s4 :: v_dual_mov_b32 v1, s5
	s_sleep 1
	global_store_b64 v[8:9], v[2:3], off
	global_wb scope:SCOPE_SYS
	s_wait_storecnt 0x0
	s_wait_xcnt 0x0
	global_atomic_cmpswap_b64 v[0:1], v12, v[0:3], s[2:3] offset:32 th:TH_ATOMIC_RETURN scope:SCOPE_SYS
	s_wait_loadcnt 0x0
	v_cmp_eq_u64_e32 vcc_lo, v[0:1], v[2:3]
	v_mov_b64_e32 v[2:3], v[0:1]
	s_or_b32 s10, vcc_lo, s10
	s_delay_alu instid0(SALU_CYCLE_1)
	s_and_not1_b32 exec_lo, exec_lo, s10
	s_cbranch_execnz .LBB14_375
.LBB14_376:
	s_or_b32 exec_lo, exec_lo, s7
	v_mov_b32_e32 v3, 0
	s_mov_b32 s10, exec_lo
	s_mov_b32 s7, exec_lo
	v_mbcnt_lo_u32_b32 v2, s10, 0
	global_load_b64 v[0:1], v3, s[2:3] offset:16
	s_wait_xcnt 0x0
	v_cmpx_eq_u32_e32 0, v2
	s_cbranch_execz .LBB14_378
; %bb.377:
	s_bcnt1_i32_b32 s10, s10
	s_delay_alu instid0(SALU_CYCLE_1)
	v_mov_b32_e32 v2, s10
	global_wb scope:SCOPE_SYS
	s_wait_loadcnt 0x0
	s_wait_storecnt 0x0
	global_atomic_add_u64 v[0:1], v[2:3], off offset:8 scope:SCOPE_SYS
.LBB14_378:
	s_wait_xcnt 0x0
	s_or_b32 exec_lo, exec_lo, s7
	s_wait_loadcnt 0x0
	global_load_b64 v[2:3], v[0:1], off offset:16
	s_wait_loadcnt 0x0
	v_cmp_eq_u64_e32 vcc_lo, 0, v[2:3]
	s_cbranch_vccnz .LBB14_380
; %bb.379:
	global_load_b32 v0, v[0:1], off offset:24
	s_wait_xcnt 0x0
	v_mov_b32_e32 v1, 0
	s_wait_loadcnt 0x0
	v_readfirstlane_b32 s7, v0
	global_wb scope:SCOPE_SYS
	s_wait_storecnt 0x0
	global_store_b64 v[2:3], v[0:1], off scope:SCOPE_SYS
	s_and_b32 m0, s7, 0xffffff
	s_sendmsg sendmsg(MSG_INTERRUPT)
.LBB14_380:
	s_wait_xcnt 0x0
	s_or_b32 exec_lo, exec_lo, s1
	v_add_nc_u64_e32 v[0:1], v[10:11], v[34:35]
	s_branch .LBB14_384
.LBB14_381:                             ;   in Loop: Header=BB14_384 Depth=1
	s_wait_xcnt 0x0
	s_or_b32 exec_lo, exec_lo, s1
	s_delay_alu instid0(VALU_DEP_1)
	v_readfirstlane_b32 s1, v2
	s_cmp_eq_u32 s1, 0
	s_cbranch_scc1 .LBB14_383
; %bb.382:                              ;   in Loop: Header=BB14_384 Depth=1
	s_sleep 1
	s_cbranch_execnz .LBB14_384
	s_branch .LBB14_386
.LBB14_383:
	s_branch .LBB14_386
.LBB14_384:                             ; =>This Inner Loop Header: Depth=1
	v_mov_b32_e32 v2, 1
	s_and_saveexec_b32 s1, s0
	s_cbranch_execz .LBB14_381
; %bb.385:                              ;   in Loop: Header=BB14_384 Depth=1
	global_load_b32 v2, v[4:5], off offset:20 scope:SCOPE_SYS
	s_wait_loadcnt 0x0
	global_inv scope:SCOPE_SYS
	v_and_b32_e32 v2, 1, v2
	s_branch .LBB14_381
.LBB14_386:
	global_load_b64 v[0:1], v[0:1], off
	s_wait_xcnt 0x0
	s_and_saveexec_b32 s7, s0
	s_cbranch_execz .LBB14_390
; %bb.387:
	v_mov_b32_e32 v10, 0
	s_clause 0x2
	global_load_b64 v[2:3], v10, s[2:3] offset:40
	global_load_b64 v[14:15], v10, s[2:3] offset:24 scope:SCOPE_SYS
	global_load_b64 v[4:5], v10, s[2:3]
	s_wait_loadcnt 0x2
	v_readfirstlane_b32 s10, v2
	v_readfirstlane_b32 s11, v3
	s_add_nc_u64 s[0:1], s[10:11], 1
	s_delay_alu instid0(SALU_CYCLE_1) | instskip(NEXT) | instid1(SALU_CYCLE_1)
	s_add_nc_u64 s[4:5], s[0:1], s[4:5]
	s_cmp_eq_u64 s[4:5], 0
	s_cselect_b32 s1, s1, s5
	s_cselect_b32 s0, s0, s4
	v_mov_b32_e32 v13, s1
	s_and_b64 s[4:5], s[0:1], s[10:11]
	v_mov_b32_e32 v12, s0
	s_mul_u64 s[4:5], s[4:5], 24
	s_wait_loadcnt 0x0
	v_add_nc_u64_e32 v[8:9], s[4:5], v[4:5]
	global_store_b64 v[8:9], v[14:15], off
	global_wb scope:SCOPE_SYS
	s_wait_storecnt 0x0
	s_wait_xcnt 0x0
	global_atomic_cmpswap_b64 v[4:5], v10, v[12:15], s[2:3] offset:24 th:TH_ATOMIC_RETURN scope:SCOPE_SYS
	s_wait_loadcnt 0x0
	v_cmp_ne_u64_e32 vcc_lo, v[4:5], v[14:15]
	s_and_b32 exec_lo, exec_lo, vcc_lo
	s_cbranch_execz .LBB14_390
; %bb.388:
	s_mov_b32 s4, 0
.LBB14_389:                             ; =>This Inner Loop Header: Depth=1
	v_dual_mov_b32 v2, s0 :: v_dual_mov_b32 v3, s1
	s_sleep 1
	global_store_b64 v[8:9], v[4:5], off
	global_wb scope:SCOPE_SYS
	s_wait_storecnt 0x0
	s_wait_xcnt 0x0
	global_atomic_cmpswap_b64 v[2:3], v10, v[2:5], s[2:3] offset:24 th:TH_ATOMIC_RETURN scope:SCOPE_SYS
	s_wait_loadcnt 0x0
	v_cmp_eq_u64_e32 vcc_lo, v[2:3], v[4:5]
	v_mov_b64_e32 v[4:5], v[2:3]
	s_or_b32 s4, vcc_lo, s4
	s_delay_alu instid0(SALU_CYCLE_1)
	s_and_not1_b32 exec_lo, exec_lo, s4
	s_cbranch_execnz .LBB14_389
.LBB14_390:
	s_or_b32 exec_lo, exec_lo, s7
.LBB14_391:
	s_delay_alu instid0(SALU_CYCLE_1)
	s_or_b32 exec_lo, exec_lo, s6
	v_mov_b64_e32 v[2:3], v[6:7]
	s_mov_b32 s0, 0
.LBB14_392:                             ; =>This Inner Loop Header: Depth=1
	global_load_u8 v4, v[2:3], off
	s_wait_xcnt 0x0
	v_add_nc_u64_e32 v[2:3], 1, v[2:3]
	s_wait_loadcnt 0x0
	v_cmp_eq_u16_e32 vcc_lo, 0, v4
	s_or_b32 s0, vcc_lo, s0
	s_delay_alu instid0(SALU_CYCLE_1)
	s_and_not1_b32 exec_lo, exec_lo, s0
	s_cbranch_execnz .LBB14_392
; %bb.393:
	s_or_b32 exec_lo, exec_lo, s0
	v_dual_mov_b32 v3, v7 :: v_dual_sub_nc_u32 v4, v2, v6
	s_get_pc_i64 s[0:1]
	s_add_nc_u64 s[0:1], s[0:1], __ockl_fprintf_append_string_n@rel64+4
	v_dual_mov_b32 v2, v6 :: v_dual_mov_b32 v6, 1
	s_delay_alu instid0(VALU_DEP_2)
	v_ashrrev_i32_e32 v5, 31, v4
	s_swap_pc_i64 s[30:31], s[0:1]
	s_trap 2
.Lfunc_end14:
	.size	__assert_fail, .Lfunc_end14-__assert_fail
                                        ; -- End function
	.set .L__assert_fail.num_vgpr, max(53, .L__ockl_fprintf_append_string_n.num_vgpr)
	.set .L__assert_fail.num_agpr, max(0, .L__ockl_fprintf_append_string_n.num_agpr)
	.set .L__assert_fail.numbered_sgpr, max(34, .L__ockl_fprintf_append_string_n.numbered_sgpr)
	.set .L__assert_fail.num_named_barrier, max(0, .L__ockl_fprintf_append_string_n.num_named_barrier)
	.set .L__assert_fail.private_seg_size, 64+max(.L__ockl_fprintf_append_string_n.private_seg_size)
	.set .L__assert_fail.uses_vcc, or(1, .L__ockl_fprintf_append_string_n.uses_vcc)
	.set .L__assert_fail.uses_flat_scratch, or(1, .L__ockl_fprintf_append_string_n.uses_flat_scratch)
	.set .L__assert_fail.has_dyn_sized_stack, or(0, .L__ockl_fprintf_append_string_n.has_dyn_sized_stack)
	.set .L__assert_fail.has_recursion, or(0, .L__ockl_fprintf_append_string_n.has_recursion)
	.set .L__assert_fail.has_indirect_call, or(0, .L__ockl_fprintf_append_string_n.has_indirect_call)
	.section	.AMDGPU.csdata,"",@progbits
; Function info:
; codeLenInByte = 15748
; TotalNumSgprs: 36
; NumVgprs: 53
; ScratchSize: 64
; MemoryBound: 0
	.section	.text._ZN9rocsolver6v33100L11stedcx_sortIffPfEEviPT0_lT1_iiliPiS6_,"axG",@progbits,_ZN9rocsolver6v33100L11stedcx_sortIffPfEEviPT0_lT1_iiliPiS6_,comdat
	.globl	_ZN9rocsolver6v33100L11stedcx_sortIffPfEEviPT0_lT1_iiliPiS6_ ; -- Begin function _ZN9rocsolver6v33100L11stedcx_sortIffPfEEviPT0_lT1_iiliPiS6_
	.p2align	8
	.type	_ZN9rocsolver6v33100L11stedcx_sortIffPfEEviPT0_lT1_iiliPiS6_,@function
_ZN9rocsolver6v33100L11stedcx_sortIffPfEEviPT0_lT1_iiliPiS6_: ; @_ZN9rocsolver6v33100L11stedcx_sortIffPfEEviPT0_lT1_iiliPiS6_
; %bb.0:
	s_load_b32 s33, s[0:1], 0x30
	s_bfe_u32 s2, ttmp6, 0x40014
	s_lshr_b32 s3, ttmp7, 16
	s_add_co_i32 s2, s2, 1
	s_bfe_u32 s4, ttmp6, 0x40008
	s_mul_i32 s2, s3, s2
	s_getreg_b32 s5, hwreg(HW_REG_IB_STS2, 6, 4)
	s_add_co_i32 s4, s4, s2
	s_cmp_eq_u32 s5, 0
	s_mov_b32 s19, 0
	s_cselect_b32 s16, s3, s4
	s_mov_b32 s32, 0
	s_wait_kmcnt 0x0
	s_cmp_ge_i32 s16, s33
	s_cbranch_scc1 .LBB15_70
; %bb.1:
	s_clause 0x3
	s_load_b32 s20, s[0:1], 0x0
	s_load_b256 s[4:11], s[0:1], 0x8
	s_load_b64 s[24:25], s[0:1], 0x28
	s_load_b128 s[12:15], s[0:1], 0x38
	s_mov_b32 s17, s19
	s_add_nc_u64 s[22:23], s[0:1], 0x48
	s_load_b32 s36, s[0:1], 0x50
	v_and_b32_e32 v6, 0x3ff, v0
	v_bfe_u32 v7, v0, 10, 10
	v_bfe_u32 v8, v0, 20, 10
	v_mov_b32_e32 v1, 0
	s_mov_b32 s27, s19
	s_mov_b32 s42, 0
	s_get_pc_i64 s[28:29]
	s_add_nc_u64 s[28:29], s[28:29], __const._ZN9rocsolver6v33100L20shell_sort_ascendingIfiEEvT0_PT_PS2_.gaps@rel64+4
	v_or3_b32 v0, v7, v8, v6
                                        ; implicit-def: $sgpr43
                                        ; implicit-def: $sgpr40
                                        ; implicit-def: $sgpr44
                                        ; implicit-def: $sgpr45
	s_wait_kmcnt 0x0
	s_ashr_i32 s21, s20, 31
	s_mov_b32 s30, s10
	s_mul_u64 s[0:1], s[20:21], s[16:17]
	s_mov_b32 s26, s11
	s_lshl_b64 s[2:3], s[0:1], 2
	s_cmp_lg_u64 s[8:9], 0
	v_cmp_eq_u32_e64 s0, 0, v0
	s_cselect_b32 s21, -1, 0
	s_ashr_i32 s31, s10, 31
	s_delay_alu instid0(SALU_CYCLE_1)
	s_lshl_b64 s[34:35], s[30:31], 2
	s_cmp_lg_u64 s[14:15], 0
	s_add_nc_u64 s[30:31], s[12:13], s[2:3]
	s_cselect_b32 s37, -1, 0
	s_cmp_eq_u64 s[4:5], 0
	s_add_nc_u64 s[8:9], s[8:9], s[34:35]
	s_cselect_b32 s38, -1, 0
	s_cmp_lg_u64 s[12:13], 0
	s_cselect_b32 s39, -1, 0
	s_min_i32 s1, s20, s11
	s_delay_alu instid0(SALU_CYCLE_1) | instskip(SKIP_1) | instid1(SALU_CYCLE_1)
	s_cmp_gt_i32 s1, 0
	s_cselect_b32 s1, -1, 0
	s_and_b32 s41, s1, s39
	s_branch .LBB15_4
.LBB15_2:                               ;   in Loop: Header=BB15_4 Depth=1
	s_or_b32 exec_lo, exec_lo, s2
	s_delay_alu instid0(SALU_CYCLE_1)
	s_and_not1_b32 s1, s45, exec_lo
	s_and_b32 s2, s10, exec_lo
	s_and_not1_b32 s44, s44, exec_lo
	s_or_b32 s45, s1, s2
	s_or_not1_b32 s47, s17, exec_lo
.LBB15_3:                               ;   in Loop: Header=BB15_4 Depth=1
	s_or_b32 exec_lo, exec_lo, s3
	s_delay_alu instid0(SALU_CYCLE_1) | instskip(NEXT) | instid1(SALU_CYCLE_1)
	s_and_b32 s1, exec_lo, s47
	s_or_b32 s42, s1, s42
	s_and_not1_b32 s1, s40, exec_lo
	s_and_b32 s2, s45, exec_lo
	s_and_not1_b32 s3, s43, exec_lo
	s_and_b32 s10, s44, exec_lo
	s_or_b32 s40, s1, s2
	s_or_b32 s43, s3, s10
	s_and_not1_b32 exec_lo, exec_lo, s42
	s_cbranch_execz .LBB15_66
.LBB15_4:                               ; =>This Loop Header: Depth=1
                                        ;     Child Loop BB15_11 Depth 2
                                        ;     Child Loop BB15_15 Depth 2
                                        ;       Child Loop BB15_18 Depth 3
                                        ;         Child Loop BB15_22 Depth 4
                                        ;     Child Loop BB15_33 Depth 2
                                        ;     Child Loop BB15_47 Depth 2
                                        ;       Child Loop BB15_50 Depth 3
                                        ;         Child Loop BB15_54 Depth 4
                                        ;     Child Loop BB15_58 Depth 2
	s_ashr_i32 s17, s16, 31
	s_and_not1_b32 vcc_lo, exec_lo, s21
	s_mov_b64 s[10:11], 0
	s_cbranch_vccnz .LBB15_6
; %bb.5:                                ;   in Loop: Header=BB15_4 Depth=1
	s_mul_u64 s[2:3], s[24:25], s[16:17]
	s_delay_alu instid0(SALU_CYCLE_1) | instskip(NEXT) | instid1(SALU_CYCLE_1)
	s_lshl_b64 s[2:3], s[2:3], 2
	s_add_nc_u64 s[10:11], s[8:9], s[2:3]
.LBB15_6:                               ;   in Loop: Header=BB15_4 Depth=1
	s_and_not1_b32 vcc_lo, exec_lo, s37
	s_mov_b32 s46, s20
	s_cbranch_vccnz .LBB15_8
; %bb.7:                                ;   in Loop: Header=BB15_4 Depth=1
	s_lshl_b64 s[2:3], s[16:17], 2
	s_delay_alu instid0(SALU_CYCLE_1)
	s_add_nc_u64 s[2:3], s[14:15], s[2:3]
	global_load_b32 v0, v1, s[2:3]
	s_wait_loadcnt 0x0
	v_readfirstlane_b32 s46, v0
.LBB15_8:                               ;   in Loop: Header=BB15_4 Depth=1
	s_delay_alu instid0(VALU_DEP_1) | instskip(SKIP_2) | instid1(SALU_CYCLE_1)
	s_cmp_lt_i32 s46, 1
	s_mov_b32 s47, -1
	s_cselect_b32 s1, -1, 0
	s_or_b32 s1, s38, s1
	s_barrier_signal -1
	s_and_b32 vcc_lo, exec_lo, s1
	s_mov_b32 s1, -1
	s_barrier_wait -1
	s_cbranch_vccnz .LBB15_42
; %bb.9:                                ;   in Loop: Header=BB15_4 Depth=1
	s_load_b64 s[2:3], s[22:23], 0xc
	s_barrier_signal -1
	s_barrier_wait -1
	s_wait_kmcnt 0x0
	s_and_b32 s1, s2, 0xffff
	s_lshr_b32 s2, s2, 16
	v_mad_u32_u24 v0, v7, s1, v6
	s_mul_i32 s48, s2, s1
	s_and_b32 s1, s3, 0xffff
	s_delay_alu instid0(VALU_DEP_1) | instskip(SKIP_1) | instid1(VALU_DEP_1)
	v_mad_u32 v0, s48, v8, v0
	s_mul_i32 s48, s48, s1
	v_cmp_gt_u32_e32 vcc_lo, s46, v0
	s_and_b32 s2, s39, vcc_lo
	s_delay_alu instid0(SALU_CYCLE_1)
	s_and_saveexec_b32 s1, s2
	s_cbranch_execz .LBB15_12
; %bb.10:                               ;   in Loop: Header=BB15_4 Depth=1
	v_mov_b32_e32 v2, v0
	s_mov_b32 s2, 0
.LBB15_11:                              ;   Parent Loop BB15_4 Depth=1
                                        ; =>  This Inner Loop Header: Depth=2
	global_store_b32 v2, v2, s[30:31] scale_offset
	s_wait_xcnt 0x0
	v_add_nc_u32_e32 v2, s48, v2
	s_delay_alu instid0(VALU_DEP_1) | instskip(SKIP_1) | instid1(SALU_CYCLE_1)
	v_cmp_le_u32_e32 vcc_lo, s46, v2
	s_or_b32 s2, vcc_lo, s2
	s_and_not1_b32 exec_lo, exec_lo, s2
	s_cbranch_execnz .LBB15_11
.LBB15_12:                              ;   in Loop: Header=BB15_4 Depth=1
	s_or_b32 exec_lo, exec_lo, s1
	s_mul_u64 s[2:3], s[6:7], s[16:17]
	s_wait_storecnt 0x0
	s_lshl_b64 s[2:3], s[2:3], 2
	s_barrier_signal -1
	s_add_nc_u64 s[2:3], s[4:5], s[2:3]
	s_barrier_wait -1
	s_and_saveexec_b32 s1, s0
	s_cbranch_execz .LBB15_29
; %bb.13:                               ;   in Loop: Header=BB15_4 Depth=1
	s_mov_b32 s17, 0
	s_branch .LBB15_15
.LBB15_14:                              ;   in Loop: Header=BB15_15 Depth=2
	s_wait_xcnt 0x0
	s_add_co_i32 s17, s17, 1
	s_delay_alu instid0(SALU_CYCLE_1)
	s_cmp_eq_u32 s17, 8
	s_cbranch_scc1 .LBB15_29
.LBB15_15:                              ;   Parent Loop BB15_4 Depth=1
                                        ; =>  This Loop Header: Depth=2
                                        ;       Child Loop BB15_18 Depth 3
                                        ;         Child Loop BB15_22 Depth 4
	s_load_b32 s49, s[28:29], s17 offset:0x0 scale_offset
	s_wait_kmcnt 0x0
	s_cmp_ge_i32 s49, s46
	s_cbranch_scc1 .LBB15_14
; %bb.16:                               ;   in Loop: Header=BB15_15 Depth=2
	s_mov_b32 s50, 0
	s_mov_b32 s12, s49
	s_branch .LBB15_18
.LBB15_17:                              ;   in Loop: Header=BB15_18 Depth=3
	s_add_co_i32 s12, s12, 1
	s_add_co_i32 s50, s50, 1
	s_cmp_ge_i32 s12, s46
	s_cbranch_scc1 .LBB15_14
.LBB15_18:                              ;   Parent Loop BB15_4 Depth=1
                                        ;     Parent Loop BB15_15 Depth=2
                                        ; =>    This Loop Header: Depth=3
                                        ;         Child Loop BB15_22 Depth 4
	s_wait_xcnt 0x0
	v_mov_b32_e32 v2, s12
	s_and_not1_b32 vcc_lo, exec_lo, s39
	s_ashr_i32 s13, s12, 31
	global_load_b32 v2, v2, s[2:3] scale_offset
	s_cbranch_vccnz .LBB15_20
; %bb.19:                               ;   in Loop: Header=BB15_18 Depth=3
	s_lshl_b64 s[34:35], s[12:13], 2
	s_delay_alu instid0(SALU_CYCLE_1)
	s_add_nc_u64 s[34:35], s[30:31], s[34:35]
	global_load_b32 v3, v1, s[34:35]
	s_cmp_lt_i32 s12, s49
	s_wait_xcnt 0x0
	s_mov_b64 s[34:35], s[12:13]
	s_mov_b32 s18, s50
	s_cbranch_scc0 .LBB15_22
	s_branch .LBB15_27
.LBB15_20:                              ;   in Loop: Header=BB15_18 Depth=3
	v_mov_b32_e32 v3, 0
	s_cmp_lt_i32 s12, s49
	s_mov_b64 s[34:35], s[12:13]
	s_mov_b32 s18, s50
	s_cbranch_scc0 .LBB15_22
	s_branch .LBB15_27
.LBB15_21:                              ;   in Loop: Header=BB15_22 Depth=4
                                        ; implicit-def: $sgpr13
	s_and_b32 vcc_lo, exec_lo, s35
	s_mov_b32 s18, s13
	s_cbranch_vccnz .LBB15_26
.LBB15_22:                              ;   Parent Loop BB15_4 Depth=1
                                        ;     Parent Loop BB15_15 Depth=2
                                        ;       Parent Loop BB15_18 Depth=3
                                        ; =>      This Inner Loop Header: Depth=4
	s_wait_xcnt 0x0
	v_mov_b32_e32 v4, s18
	s_add_co_i32 s34, s49, s18
	s_mov_b32 s35, -1
	global_load_b32 v4, v4, s[2:3] scale_offset
	s_wait_loadcnt 0x0
	v_cmp_ngt_f32_e32 vcc_lo, v4, v2
	s_cbranch_vccnz .LBB15_21
; %bb.23:                               ;   in Loop: Header=BB15_22 Depth=4
	v_mov_b32_e32 v5, s34
	s_and_not1_b32 vcc_lo, exec_lo, s39
	global_store_b32 v5, v4, s[2:3] scale_offset
	s_cbranch_vccnz .LBB15_25
; %bb.24:                               ;   in Loop: Header=BB15_22 Depth=4
	s_lshl_b64 s[52:53], s[18:19], 2
	s_ashr_i32 s35, s34, 31
	s_add_nc_u64 s[52:53], s[30:31], s[52:53]
	s_lshl_b64 s[34:35], s[34:35], 2
	global_load_b32 v4, v1, s[52:53]
	s_add_nc_u64 s[34:35], s[30:31], s[34:35]
	s_wait_loadcnt 0x0
	global_store_b32 v1, v4, s[34:35]
.LBB15_25:                              ;   in Loop: Header=BB15_22 Depth=4
	s_sub_co_i32 s13, s18, s49
	s_cmp_lt_i32 s18, s49
	s_wait_xcnt 0x0
	s_mov_b32 s34, s18
	s_cselect_b32 s35, -1, 0
	s_delay_alu instid0(SALU_CYCLE_1)
	s_and_b32 vcc_lo, exec_lo, s35
	s_mov_b32 s18, s13
	s_cbranch_vccz .LBB15_22
.LBB15_26:                              ;   in Loop: Header=BB15_18 Depth=3
	s_ashr_i32 s35, s34, 31
.LBB15_27:                              ;   in Loop: Header=BB15_18 Depth=3
	s_delay_alu instid0(SALU_CYCLE_1)
	s_lshl_b64 s[34:35], s[34:35], 2
	s_and_not1_b32 vcc_lo, exec_lo, s39
	s_add_nc_u64 s[52:53], s[2:3], s[34:35]
	s_wait_loadcnt 0x0
	global_store_b32 v1, v2, s[52:53]
	s_cbranch_vccnz .LBB15_17
; %bb.28:                               ;   in Loop: Header=BB15_18 Depth=3
	s_add_nc_u64 s[34:35], s[30:31], s[34:35]
	global_store_b32 v1, v3, s[34:35]
	s_branch .LBB15_17
.LBB15_29:                              ;   in Loop: Header=BB15_4 Depth=1
	s_wait_xcnt 0x0
	s_or_b32 exec_lo, exec_lo, s1
	s_cmp_lt_u32 s46, 2
	s_wait_storecnt 0x0
	s_cselect_b32 s17, -1, 0
	s_barrier_signal -1
	s_and_b32 vcc_lo, exec_lo, s17
	s_barrier_wait -1
	s_cbranch_vccnz .LBB15_39
; %bb.30:                               ;   in Loop: Header=BB15_4 Depth=1
	s_add_co_i32 s13, s46, -1
	s_mov_b32 s17, -1
	s_mov_b32 s12, exec_lo
	v_cmpx_gt_u32_e64 s13, v0
	s_cbranch_execz .LBB15_38
; %bb.31:                               ;   in Loop: Header=BB15_4 Depth=1
	s_mov_b32 s17, 0
                                        ; implicit-def: $sgpr18
	s_branch .LBB15_33
.LBB15_32:                              ;   in Loop: Header=BB15_33 Depth=2
	s_or_b32 exec_lo, exec_lo, s49
	s_xor_b32 s34, s35, -1
	s_and_b32 s1, exec_lo, s1
	s_delay_alu instid0(SALU_CYCLE_1) | instskip(SKIP_2) | instid1(SALU_CYCLE_1)
	s_or_b32 s17, s1, s17
	s_and_not1_b32 s1, s18, exec_lo
	s_and_b32 s18, s34, exec_lo
	s_or_b32 s18, s1, s18
	s_and_not1_b32 exec_lo, exec_lo, s17
	s_cbranch_execz .LBB15_37
.LBB15_33:                              ;   Parent Loop BB15_4 Depth=1
                                        ; =>  This Inner Loop Header: Depth=2
	global_load_b32 v2, v0, s[2:3] scale_offset
	s_mov_b32 s35, exec_lo
	s_wait_loadcnt 0x0
	v_cmp_u_f32_e64 s34, v2, v2
	v_cmpx_o_f32_e32 v2, v2
	s_cbranch_execz .LBB15_35
; %bb.34:                               ;   in Loop: Header=BB15_33 Depth=2
	v_lshl_add_u64 v[4:5], v[0:1], 2, s[2:3]
	s_and_not1_b32 s34, s34, exec_lo
	global_load_b32 v3, v[4:5], off offset:4
	s_wait_loadcnt 0x0
	v_cmp_u_f32_e32 vcc_lo, v3, v3
	v_cmp_le_f32_e64 s1, v2, v3
	s_or_b32 s1, vcc_lo, s1
	s_delay_alu instid0(SALU_CYCLE_1) | instskip(NEXT) | instid1(SALU_CYCLE_1)
	s_and_b32 s1, s1, exec_lo
	s_or_b32 s34, s34, s1
.LBB15_35:                              ;   in Loop: Header=BB15_33 Depth=2
	s_or_b32 exec_lo, exec_lo, s35
	s_mov_b32 s1, -1
	s_mov_b32 s35, -1
	s_and_saveexec_b32 s49, s34
	s_cbranch_execz .LBB15_32
; %bb.36:                               ;   in Loop: Header=BB15_33 Depth=2
	v_add_nc_u32_e32 v0, s48, v0
	s_xor_b32 s35, exec_lo, -1
	s_delay_alu instid0(VALU_DEP_1)
	v_cmp_le_u32_e32 vcc_lo, s13, v0
	s_or_not1_b32 s1, vcc_lo, exec_lo
	s_branch .LBB15_32
.LBB15_37:                              ;   in Loop: Header=BB15_4 Depth=1
	s_or_b32 exec_lo, exec_lo, s17
	s_delay_alu instid0(SALU_CYCLE_1)
	s_or_not1_b32 s17, s18, exec_lo
.LBB15_38:                              ;   in Loop: Header=BB15_4 Depth=1
	s_or_b32 exec_lo, exec_lo, s12
.LBB15_39:                              ;   in Loop: Header=BB15_4 Depth=1
	s_mov_b32 s1, 0
	s_and_saveexec_b32 s2, s17
	s_cbranch_execz .LBB15_41
; %bb.40:                               ;   in Loop: Header=BB15_4 Depth=1
	s_mov_b32 s1, exec_lo
	s_barrier_signal -1
	s_barrier_wait -1
.LBB15_41:                              ;   in Loop: Header=BB15_4 Depth=1
	s_or_b32 exec_lo, exec_lo, s2
.LBB15_42:                              ;   in Loop: Header=BB15_4 Depth=1
	s_delay_alu instid0(SALU_CYCLE_1)
	s_and_not1_b32 s45, s45, exec_lo
	s_or_b32 s44, s44, exec_lo
	s_and_saveexec_b32 s3, s1
	s_cbranch_execz .LBB15_3
; %bb.43:                               ;   in Loop: Header=BB15_4 Depth=1
	s_cmp_lg_u64 s[10:11], 0
	s_mov_b32 s17, -1
	s_cselect_b32 s1, -1, 0
	s_delay_alu instid0(SALU_CYCLE_1)
	s_and_b32 s1, s1, s41
	s_barrier_signal -1
	s_and_b32 vcc_lo, exec_lo, s1
	s_mov_b32 s1, -1
	s_barrier_wait -1
	s_cbranch_vccz .LBB15_64
; %bb.44:                               ;   in Loop: Header=BB15_4 Depth=1
	s_load_b64 s[12:13], s[22:23], 0xc
	s_wait_kmcnt 0x0
	s_and_b32 s1, s12, 0xffff
	s_lshr_b32 s2, s12, 16
	v_mad_u32_u24 v0, v7, s1, v6
	s_mul_i32 s35, s2, s1
	s_and_b32 s1, s13, 0xffff
	s_cmp_lt_i32 s46, 0
	s_cselect_b32 s34, s20, s46
	v_mad_u32 v0, s35, v8, v0
	s_cmp_eq_u32 s34, 0
	s_mul_i32 s35, s35, s1
	s_cbranch_scc1 .LBB15_55
; %bb.45:                               ;   in Loop: Header=BB15_4 Depth=1
	s_delay_alu instid0(VALU_DEP_1)
	v_cmp_eq_u32_e64 s1, 0, v0
	v_cmp_gt_u32_e64 s2, s20, v0
	s_mov_b32 s18, 0
	s_branch .LBB15_47
.LBB15_46:                              ;   in Loop: Header=BB15_47 Depth=2
	s_add_co_i32 s18, s18, 1
	s_delay_alu instid0(SALU_CYCLE_1)
	s_cmp_eq_u32 s18, s34
	s_cbranch_scc1 .LBB15_55
.LBB15_47:                              ;   Parent Loop BB15_4 Depth=1
                                        ; =>  This Loop Header: Depth=2
                                        ;       Child Loop BB15_50 Depth 3
                                        ;         Child Loop BB15_54 Depth 4
	v_mov_b32_e32 v2, s18
	s_barrier_signal -1
	s_barrier_wait -1
	global_load_b32 v2, v2, s[30:31] scale_offset
	s_wait_loadcnt 0x0
	v_cmp_eq_u32_e32 vcc_lo, s18, v2
	s_cbranch_vccnz .LBB15_46
; %bb.48:                               ;   in Loop: Header=BB15_47 Depth=2
	s_lshl_b64 s[12:13], s[18:19], 2
	s_delay_alu instid0(SALU_CYCLE_1)
	s_add_nc_u64 s[12:13], s[30:31], s[12:13]
	s_branch .LBB15_50
.LBB15_49:                              ;   in Loop: Header=BB15_50 Depth=3
	s_or_b32 exec_lo, exec_lo, s46
	s_wait_storecnt 0x0
	s_barrier_signal -1
	s_barrier_wait -1
	global_load_b32 v2, v1, s[12:13]
	s_wait_loadcnt 0x0
	v_cmp_eq_u32_e32 vcc_lo, s18, v2
	s_cbranch_vccnz .LBB15_46
.LBB15_50:                              ;   Parent Loop BB15_4 Depth=1
                                        ;     Parent Loop BB15_47 Depth=2
                                        ; =>    This Loop Header: Depth=3
                                        ;         Child Loop BB15_54 Depth 4
	global_load_b32 v4, v2, s[30:31] scale_offset
	v_ashrrev_i32_e32 v3, 31, v2
	s_wait_loadcnt 0x0
	s_barrier_signal -1
	s_barrier_wait -1
	s_wait_xcnt 0x0
	s_and_saveexec_b32 s46, s1
	s_cbranch_execz .LBB15_52
; %bb.51:                               ;   in Loop: Header=BB15_50 Depth=3
	v_lshlrev_b64_e32 v[10:11], 2, v[2:3]
	s_delay_alu instid0(VALU_DEP_1)
	v_add_nc_u64_e32 v[10:11], s[30:31], v[10:11]
	s_clause 0x1
	global_store_b32 v[10:11], v2, off
	global_store_b32 v1, v4, s[12:13]
.LBB15_52:                              ;   in Loop: Header=BB15_50 Depth=3
	s_wait_xcnt 0x0
	s_or_b32 exec_lo, exec_lo, s46
	s_wait_storecnt 0x0
	s_barrier_signal -1
	s_barrier_wait -1
	s_and_saveexec_b32 s46, s2
	s_cbranch_execz .LBB15_49
; %bb.53:                               ;   in Loop: Header=BB15_50 Depth=3
	v_dual_ashrrev_i32 v5, 31, v4 :: v_dual_mov_b32 v9, v0
	v_mul_u64_e32 v[2:3], s[26:27], v[2:3]
	s_mov_b32 s47, 0
	s_delay_alu instid0(VALU_DEP_2) | instskip(NEXT) | instid1(VALU_DEP_2)
	v_mul_u64_e32 v[4:5], s[26:27], v[4:5]
	v_lshlrev_b64_e32 v[2:3], 2, v[2:3]
	s_delay_alu instid0(VALU_DEP_2) | instskip(NEXT) | instid1(VALU_DEP_2)
	v_lshlrev_b64_e32 v[4:5], 2, v[4:5]
	v_add_nc_u64_e32 v[2:3], s[10:11], v[2:3]
	s_delay_alu instid0(VALU_DEP_2)
	v_add_nc_u64_e32 v[4:5], s[10:11], v[4:5]
.LBB15_54:                              ;   Parent Loop BB15_4 Depth=1
                                        ;     Parent Loop BB15_47 Depth=2
                                        ;       Parent Loop BB15_50 Depth=3
                                        ; =>      This Inner Loop Header: Depth=4
	s_delay_alu instid0(VALU_DEP_1) | instskip(NEXT) | instid1(VALU_DEP_2)
	v_readfirstlane_b32 s50, v4
	v_readfirstlane_b32 s51, v5
	s_delay_alu instid0(VALU_DEP_4)
	v_readfirstlane_b32 s48, v2
	v_readfirstlane_b32 s49, v3
	s_clause 0x1
	global_load_b32 v10, v9, s[50:51] scale_offset
	global_load_b32 v11, v9, s[48:49] scale_offset
	s_wait_loadcnt 0x1
	global_store_b32 v9, v10, s[48:49] scale_offset
	s_wait_loadcnt 0x0
	global_store_b32 v9, v11, s[50:51] scale_offset
	s_wait_xcnt 0x0
	v_add_nc_u32_e32 v9, s35, v9
	s_delay_alu instid0(VALU_DEP_1) | instskip(SKIP_1) | instid1(SALU_CYCLE_1)
	v_cmp_le_u32_e32 vcc_lo, s20, v9
	s_or_b32 s47, vcc_lo, s47
	s_and_not1_b32 exec_lo, exec_lo, s47
	s_cbranch_execnz .LBB15_54
	s_branch .LBB15_49
.LBB15_55:                              ;   in Loop: Header=BB15_4 Depth=1
	s_mov_b32 s2, -1
	s_mov_b32 s1, exec_lo
	s_barrier_signal -1
	s_barrier_wait -1
	s_delay_alu instid0(VALU_DEP_1)
	v_cmpx_gt_u32_e64 s34, v0
	s_cbranch_execz .LBB15_61
; %bb.56:                               ;   in Loop: Header=BB15_4 Depth=1
	s_mov_b32 s2, 0
                                        ; implicit-def: $sgpr10
                                        ; implicit-def: $sgpr12
                                        ; implicit-def: $sgpr11
	s_branch .LBB15_58
.LBB15_57:                              ;   in Loop: Header=BB15_58 Depth=2
	s_or_b32 exec_lo, exec_lo, s13
	s_xor_b32 s13, s11, -1
	s_and_b32 s18, exec_lo, s12
	s_delay_alu instid0(SALU_CYCLE_1) | instskip(SKIP_2) | instid1(SALU_CYCLE_1)
	s_or_b32 s2, s18, s2
	s_and_not1_b32 s10, s10, exec_lo
	s_and_b32 s13, s13, exec_lo
	s_or_b32 s10, s10, s13
	s_and_not1_b32 exec_lo, exec_lo, s2
	s_cbranch_execz .LBB15_60
.LBB15_58:                              ;   Parent Loop BB15_4 Depth=1
                                        ; =>  This Inner Loop Header: Depth=2
	global_load_b32 v2, v0, s[30:31] scale_offset
	s_or_b32 s11, s11, exec_lo
	s_or_b32 s12, s12, exec_lo
	s_mov_b32 s13, exec_lo
	s_wait_loadcnt 0x0
	v_cmpx_eq_u32_e64 v0, v2
	s_cbranch_execz .LBB15_57
; %bb.59:                               ;   in Loop: Header=BB15_58 Depth=2
	v_add_nc_u32_e32 v0, s35, v0
	s_and_not1_b32 s12, s12, exec_lo
	s_and_not1_b32 s11, s11, exec_lo
	s_delay_alu instid0(VALU_DEP_1) | instskip(SKIP_1) | instid1(SALU_CYCLE_1)
	v_cmp_le_u32_e32 vcc_lo, s34, v0
	s_and_b32 s18, vcc_lo, exec_lo
	s_or_b32 s12, s12, s18
	s_branch .LBB15_57
.LBB15_60:                              ;   in Loop: Header=BB15_4 Depth=1
	s_or_b32 exec_lo, exec_lo, s2
	s_delay_alu instid0(SALU_CYCLE_1)
	s_or_not1_b32 s2, s10, exec_lo
.LBB15_61:                              ;   in Loop: Header=BB15_4 Depth=1
	s_or_b32 exec_lo, exec_lo, s1
	s_mov_b32 s1, 0
	s_and_saveexec_b32 s10, s2
	s_cbranch_execz .LBB15_63
; %bb.62:                               ;   in Loop: Header=BB15_4 Depth=1
	s_mov_b32 s1, exec_lo
	s_barrier_signal -1
	s_barrier_wait -1
.LBB15_63:                              ;   in Loop: Header=BB15_4 Depth=1
	s_or_b32 exec_lo, exec_lo, s10
.LBB15_64:                              ;   in Loop: Header=BB15_4 Depth=1
	s_mov_b32 s10, -1
	s_and_saveexec_b32 s2, s1
	s_cbranch_execz .LBB15_2
; %bb.65:                               ;   in Loop: Header=BB15_4 Depth=1
	s_add_co_i32 s16, s16, s36
	s_delay_alu instid0(SALU_CYCLE_1)
	s_cmp_ge_i32 s16, s33
	s_barrier_signal -1
	s_cselect_b32 s1, -1, 0
	s_xor_b32 s10, exec_lo, -1
	s_or_not1_b32 s17, s1, exec_lo
	s_barrier_wait -1
	s_branch .LBB15_2
.LBB15_66:
	s_or_b32 exec_lo, exec_lo, s42
	s_xor_b32 s0, s43, -1
	s_mov_b32 s21, 0
	s_and_saveexec_b32 s1, s0
	s_delay_alu instid0(SALU_CYCLE_1)
	s_xor_b32 s24, exec_lo, s1
	s_cbranch_execnz .LBB15_71
; %bb.67:
	s_and_not1_saveexec_b32 s24, s24
	s_cbranch_execnz .LBB15_74
.LBB15_68:
	s_or_b32 exec_lo, exec_lo, s24
	s_and_saveexec_b32 s0, s21
.LBB15_69:
	; divergent unreachable
.LBB15_70:
	s_endpgm
.LBB15_71:
	s_mov_b32 s0, 0
	s_and_saveexec_b32 s1, s40
	s_delay_alu instid0(SALU_CYCLE_1)
	s_xor_b32 s21, exec_lo, s1
	s_cbranch_execz .LBB15_73
; %bb.72:
	s_get_pc_i64 s[0:1]
	s_add_nc_u64 s[0:1], s[0:1], .str.8@rel64+4
	s_get_pc_i64 s[2:3]
	s_add_nc_u64 s[2:3], s[2:3], __PRETTY_FUNCTION__._ZN9rocsolver6v33100L12permute_swapIfiEEvT0_PT_S2_PS2_S2_@rel64+4
	v_dual_mov_b32 v0, s0 :: v_dual_mov_b32 v1, s1
	v_dual_mov_b32 v2, 0x25b :: v_dual_mov_b32 v3, s2
	v_mov_b32_e32 v4, s3
	s_get_pc_i64 s[4:5]
	s_add_nc_u64 s[4:5], s[4:5], __assert_fail@rel64+4
	s_mov_b64 s[8:9], s[22:23]
	s_swap_pc_i64 s[30:31], s[4:5]
	s_mov_b32 s0, exec_lo
.LBB15_73:
	s_or_b32 exec_lo, exec_lo, s21
	s_delay_alu instid0(SALU_CYCLE_1)
	s_and_b32 s21, s0, exec_lo
	s_and_not1_saveexec_b32 s24, s24
	s_cbranch_execz .LBB15_68
.LBB15_74:
	s_get_pc_i64 s[0:1]
	s_add_nc_u64 s[0:1], s[0:1], .str.5@rel64+4
	s_get_pc_i64 s[2:3]
	s_add_nc_u64 s[2:3], s[2:3], __PRETTY_FUNCTION__._ZN9rocsolver6v33100L20shell_sort_ascendingIfiEEvT0_PT_PS2_@rel64+4
	v_dual_mov_b32 v0, s0 :: v_dual_mov_b32 v1, s1
	v_dual_mov_b32 v2, 0xea :: v_dual_mov_b32 v3, s2
	v_mov_b32_e32 v4, s3
	s_get_pc_i64 s[4:5]
	s_add_nc_u64 s[4:5], s[4:5], __assert_fail@rel64+4
	s_mov_b64 s[8:9], s[22:23]
	s_swap_pc_i64 s[30:31], s[4:5]
	s_or_b32 s21, s21, exec_lo
	s_or_b32 exec_lo, exec_lo, s24
	s_and_saveexec_b32 s0, s21
	s_cbranch_execnz .LBB15_69
	s_branch .LBB15_70
	.section	.rodata,"a",@progbits
	.p2align	6, 0x0
	.amdhsa_kernel _ZN9rocsolver6v33100L11stedcx_sortIffPfEEviPT0_lT1_iiliPiS6_
		.amdhsa_group_segment_fixed_size 0
		.amdhsa_private_segment_fixed_size 64
		.amdhsa_kernarg_size 328
		.amdhsa_user_sgpr_count 2
		.amdhsa_user_sgpr_dispatch_ptr 0
		.amdhsa_user_sgpr_queue_ptr 0
		.amdhsa_user_sgpr_kernarg_segment_ptr 1
		.amdhsa_user_sgpr_dispatch_id 0
		.amdhsa_user_sgpr_kernarg_preload_length 0
		.amdhsa_user_sgpr_kernarg_preload_offset 0
		.amdhsa_user_sgpr_private_segment_size 0
		.amdhsa_wavefront_size32 1
		.amdhsa_uses_dynamic_stack 0
		.amdhsa_enable_private_segment 1
		.amdhsa_system_sgpr_workgroup_id_x 1
		.amdhsa_system_sgpr_workgroup_id_y 0
		.amdhsa_system_sgpr_workgroup_id_z 1
		.amdhsa_system_sgpr_workgroup_info 0
		.amdhsa_system_vgpr_workitem_id 2
		.amdhsa_next_free_vgpr 53
		.amdhsa_next_free_sgpr 54
		.amdhsa_named_barrier_count 0
		.amdhsa_reserve_vcc 1
		.amdhsa_float_round_mode_32 0
		.amdhsa_float_round_mode_16_64 0
		.amdhsa_float_denorm_mode_32 3
		.amdhsa_float_denorm_mode_16_64 3
		.amdhsa_fp16_overflow 0
		.amdhsa_memory_ordered 1
		.amdhsa_forward_progress 1
		.amdhsa_inst_pref_size 19
		.amdhsa_round_robin_scheduling 0
		.amdhsa_exception_fp_ieee_invalid_op 0
		.amdhsa_exception_fp_denorm_src 0
		.amdhsa_exception_fp_ieee_div_zero 0
		.amdhsa_exception_fp_ieee_overflow 0
		.amdhsa_exception_fp_ieee_underflow 0
		.amdhsa_exception_fp_ieee_inexact 0
		.amdhsa_exception_int_div_zero 0
	.end_amdhsa_kernel
	.section	.text._ZN9rocsolver6v33100L11stedcx_sortIffPfEEviPT0_lT1_iiliPiS6_,"axG",@progbits,_ZN9rocsolver6v33100L11stedcx_sortIffPfEEviPT0_lT1_iiliPiS6_,comdat
.Lfunc_end15:
	.size	_ZN9rocsolver6v33100L11stedcx_sortIffPfEEviPT0_lT1_iiliPiS6_, .Lfunc_end15-_ZN9rocsolver6v33100L11stedcx_sortIffPfEEviPT0_lT1_iiliPiS6_
                                        ; -- End function
	.set _ZN9rocsolver6v33100L11stedcx_sortIffPfEEviPT0_lT1_iiliPiS6_.num_vgpr, max(12, .L__assert_fail.num_vgpr)
	.set _ZN9rocsolver6v33100L11stedcx_sortIffPfEEviPT0_lT1_iiliPiS6_.num_agpr, max(0, .L__assert_fail.num_agpr)
	.set _ZN9rocsolver6v33100L11stedcx_sortIffPfEEviPT0_lT1_iiliPiS6_.numbered_sgpr, max(54, .L__assert_fail.numbered_sgpr)
	.set _ZN9rocsolver6v33100L11stedcx_sortIffPfEEviPT0_lT1_iiliPiS6_.num_named_barrier, max(0, .L__assert_fail.num_named_barrier)
	.set _ZN9rocsolver6v33100L11stedcx_sortIffPfEEviPT0_lT1_iiliPiS6_.private_seg_size, 0+max(.L__assert_fail.private_seg_size)
	.set _ZN9rocsolver6v33100L11stedcx_sortIffPfEEviPT0_lT1_iiliPiS6_.uses_vcc, or(1, .L__assert_fail.uses_vcc)
	.set _ZN9rocsolver6v33100L11stedcx_sortIffPfEEviPT0_lT1_iiliPiS6_.uses_flat_scratch, or(0, .L__assert_fail.uses_flat_scratch)
	.set _ZN9rocsolver6v33100L11stedcx_sortIffPfEEviPT0_lT1_iiliPiS6_.has_dyn_sized_stack, or(0, .L__assert_fail.has_dyn_sized_stack)
	.set _ZN9rocsolver6v33100L11stedcx_sortIffPfEEviPT0_lT1_iiliPiS6_.has_recursion, or(0, .L__assert_fail.has_recursion)
	.set _ZN9rocsolver6v33100L11stedcx_sortIffPfEEviPT0_lT1_iiliPiS6_.has_indirect_call, or(0, .L__assert_fail.has_indirect_call)
	.section	.AMDGPU.csdata,"",@progbits
; Kernel info:
; codeLenInByte = 2408
; TotalNumSgprs: 56
; NumVgprs: 53
; ScratchSize: 64
; MemoryBound: 0
; FloatMode: 240
; IeeeMode: 1
; LDSByteSize: 0 bytes/workgroup (compile time only)
; SGPRBlocks: 0
; VGPRBlocks: 3
; NumSGPRsForWavesPerEU: 56
; NumVGPRsForWavesPerEU: 53
; NamedBarCnt: 0
; Occupancy: 16
; WaveLimiterHint : 1
; COMPUTE_PGM_RSRC2:SCRATCH_EN: 1
; COMPUTE_PGM_RSRC2:USER_SGPR: 2
; COMPUTE_PGM_RSRC2:TRAP_HANDLER: 0
; COMPUTE_PGM_RSRC2:TGID_X_EN: 1
; COMPUTE_PGM_RSRC2:TGID_Y_EN: 0
; COMPUTE_PGM_RSRC2:TGID_Z_EN: 1
; COMPUTE_PGM_RSRC2:TIDIG_COMP_CNT: 2
	.section	.text._ZN9rocsolver6v33100L16reset_batch_infoIdiiPdEEvT2_lT0_T1_,"axG",@progbits,_ZN9rocsolver6v33100L16reset_batch_infoIdiiPdEEvT2_lT0_T1_,comdat
	.globl	_ZN9rocsolver6v33100L16reset_batch_infoIdiiPdEEvT2_lT0_T1_ ; -- Begin function _ZN9rocsolver6v33100L16reset_batch_infoIdiiPdEEvT2_lT0_T1_
	.p2align	8
	.type	_ZN9rocsolver6v33100L16reset_batch_infoIdiiPdEEvT2_lT0_T1_,@function
_ZN9rocsolver6v33100L16reset_batch_infoIdiiPdEEvT2_lT0_T1_: ; @_ZN9rocsolver6v33100L16reset_batch_infoIdiiPdEEvT2_lT0_T1_
; %bb.0:
	s_clause 0x1
	s_load_b32 s5, s[0:1], 0x24
	s_load_b64 s[2:3], s[0:1], 0x10
	s_bfe_u32 s4, ttmp6, 0x4000c
	s_and_b32 s6, ttmp6, 15
	s_add_co_i32 s7, s4, 1
	s_getreg_b32 s4, hwreg(HW_REG_IB_STS2, 6, 4)
	s_mul_i32 s7, ttmp9, s7
	s_delay_alu instid0(SALU_CYCLE_1) | instskip(SKIP_4) | instid1(SALU_CYCLE_1)
	s_add_co_i32 s6, s6, s7
	s_wait_kmcnt 0x0
	s_and_b32 s5, s5, 0xffff
	s_cmp_eq_u32 s4, 0
	s_cselect_b32 s6, ttmp9, s6
	v_mad_u32 v0, s6, s5, v0
	s_delay_alu instid0(VALU_DEP_1)
	v_cmp_gt_i32_e32 vcc_lo, s2, v0
	s_and_saveexec_b32 s2, vcc_lo
	s_cbranch_execz .LBB16_2
; %bb.1:
	v_cvt_f64_i32_e32 v[2:3], s3
	s_load_b128 s[0:3], s[0:1], 0x0
	s_bfe_u32 s5, ttmp6, 0x40010
	s_bfe_u32 s6, ttmp6, 0x40004
	s_add_co_i32 s5, s5, 1
	s_delay_alu instid0(SALU_CYCLE_1) | instskip(NEXT) | instid1(SALU_CYCLE_1)
	s_mul_i32 s5, ttmp7, s5
	s_add_co_i32 s6, s6, s5
	s_cmp_eq_u32 s4, 0
	s_cselect_b32 s4, ttmp7, s6
	s_delay_alu instid0(SALU_CYCLE_1) | instskip(SKIP_2) | instid1(SALU_CYCLE_1)
	s_ashr_i32 s5, s4, 31
	s_wait_kmcnt 0x0
	s_mul_u64 s[2:3], s[2:3], s[4:5]
	s_lshl_b64 s[2:3], s[2:3], 3
	s_delay_alu instid0(SALU_CYCLE_1)
	s_add_nc_u64 s[0:1], s[0:1], s[2:3]
	global_store_b64 v0, v[2:3], s[0:1] scale_offset
.LBB16_2:
	s_endpgm
	.section	.rodata,"a",@progbits
	.p2align	6, 0x0
	.amdhsa_kernel _ZN9rocsolver6v33100L16reset_batch_infoIdiiPdEEvT2_lT0_T1_
		.amdhsa_group_segment_fixed_size 0
		.amdhsa_private_segment_fixed_size 0
		.amdhsa_kernarg_size 280
		.amdhsa_user_sgpr_count 2
		.amdhsa_user_sgpr_dispatch_ptr 0
		.amdhsa_user_sgpr_queue_ptr 0
		.amdhsa_user_sgpr_kernarg_segment_ptr 1
		.amdhsa_user_sgpr_dispatch_id 0
		.amdhsa_user_sgpr_kernarg_preload_length 0
		.amdhsa_user_sgpr_kernarg_preload_offset 0
		.amdhsa_user_sgpr_private_segment_size 0
		.amdhsa_wavefront_size32 1
		.amdhsa_uses_dynamic_stack 0
		.amdhsa_enable_private_segment 0
		.amdhsa_system_sgpr_workgroup_id_x 1
		.amdhsa_system_sgpr_workgroup_id_y 1
		.amdhsa_system_sgpr_workgroup_id_z 0
		.amdhsa_system_sgpr_workgroup_info 0
		.amdhsa_system_vgpr_workitem_id 0
		.amdhsa_next_free_vgpr 4
		.amdhsa_next_free_sgpr 8
		.amdhsa_named_barrier_count 0
		.amdhsa_reserve_vcc 1
		.amdhsa_float_round_mode_32 0
		.amdhsa_float_round_mode_16_64 0
		.amdhsa_float_denorm_mode_32 3
		.amdhsa_float_denorm_mode_16_64 3
		.amdhsa_fp16_overflow 0
		.amdhsa_memory_ordered 1
		.amdhsa_forward_progress 1
		.amdhsa_inst_pref_size 2
		.amdhsa_round_robin_scheduling 0
		.amdhsa_exception_fp_ieee_invalid_op 0
		.amdhsa_exception_fp_denorm_src 0
		.amdhsa_exception_fp_ieee_div_zero 0
		.amdhsa_exception_fp_ieee_overflow 0
		.amdhsa_exception_fp_ieee_underflow 0
		.amdhsa_exception_fp_ieee_inexact 0
		.amdhsa_exception_int_div_zero 0
	.end_amdhsa_kernel
	.section	.text._ZN9rocsolver6v33100L16reset_batch_infoIdiiPdEEvT2_lT0_T1_,"axG",@progbits,_ZN9rocsolver6v33100L16reset_batch_infoIdiiPdEEvT2_lT0_T1_,comdat
.Lfunc_end16:
	.size	_ZN9rocsolver6v33100L16reset_batch_infoIdiiPdEEvT2_lT0_T1_, .Lfunc_end16-_ZN9rocsolver6v33100L16reset_batch_infoIdiiPdEEvT2_lT0_T1_
                                        ; -- End function
	.set _ZN9rocsolver6v33100L16reset_batch_infoIdiiPdEEvT2_lT0_T1_.num_vgpr, 4
	.set _ZN9rocsolver6v33100L16reset_batch_infoIdiiPdEEvT2_lT0_T1_.num_agpr, 0
	.set _ZN9rocsolver6v33100L16reset_batch_infoIdiiPdEEvT2_lT0_T1_.numbered_sgpr, 8
	.set _ZN9rocsolver6v33100L16reset_batch_infoIdiiPdEEvT2_lT0_T1_.num_named_barrier, 0
	.set _ZN9rocsolver6v33100L16reset_batch_infoIdiiPdEEvT2_lT0_T1_.private_seg_size, 0
	.set _ZN9rocsolver6v33100L16reset_batch_infoIdiiPdEEvT2_lT0_T1_.uses_vcc, 1
	.set _ZN9rocsolver6v33100L16reset_batch_infoIdiiPdEEvT2_lT0_T1_.uses_flat_scratch, 0
	.set _ZN9rocsolver6v33100L16reset_batch_infoIdiiPdEEvT2_lT0_T1_.has_dyn_sized_stack, 0
	.set _ZN9rocsolver6v33100L16reset_batch_infoIdiiPdEEvT2_lT0_T1_.has_recursion, 0
	.set _ZN9rocsolver6v33100L16reset_batch_infoIdiiPdEEvT2_lT0_T1_.has_indirect_call, 0
	.section	.AMDGPU.csdata,"",@progbits
; Kernel info:
; codeLenInByte = 192
; TotalNumSgprs: 10
; NumVgprs: 4
; ScratchSize: 0
; MemoryBound: 0
; FloatMode: 240
; IeeeMode: 1
; LDSByteSize: 0 bytes/workgroup (compile time only)
; SGPRBlocks: 0
; VGPRBlocks: 0
; NumSGPRsForWavesPerEU: 10
; NumVGPRsForWavesPerEU: 4
; NamedBarCnt: 0
; Occupancy: 16
; WaveLimiterHint : 0
; COMPUTE_PGM_RSRC2:SCRATCH_EN: 0
; COMPUTE_PGM_RSRC2:USER_SGPR: 2
; COMPUTE_PGM_RSRC2:TRAP_HANDLER: 0
; COMPUTE_PGM_RSRC2:TGID_X_EN: 1
; COMPUTE_PGM_RSRC2:TGID_Y_EN: 1
; COMPUTE_PGM_RSRC2:TGID_Z_EN: 0
; COMPUTE_PGM_RSRC2:TIDIG_COMP_CNT: 0
	.section	.text._ZN9rocsolver6v33100L19stedcx_case1_kernelIdEEv15rocblas_erange_T_S3_PS3_lPiS4_l,"axG",@progbits,_ZN9rocsolver6v33100L19stedcx_case1_kernelIdEEv15rocblas_erange_T_S3_PS3_lPiS4_l,comdat
	.globl	_ZN9rocsolver6v33100L19stedcx_case1_kernelIdEEv15rocblas_erange_T_S3_PS3_lPiS4_l ; -- Begin function _ZN9rocsolver6v33100L19stedcx_case1_kernelIdEEv15rocblas_erange_T_S3_PS3_lPiS4_l
	.p2align	8
	.type	_ZN9rocsolver6v33100L19stedcx_case1_kernelIdEEv15rocblas_erange_T_S3_PS3_lPiS4_l,@function
_ZN9rocsolver6v33100L19stedcx_case1_kernelIdEEv15rocblas_erange_T_S3_PS3_lPiS4_l: ; @_ZN9rocsolver6v33100L19stedcx_case1_kernelIdEEv15rocblas_erange_T_S3_PS3_lPiS4_l
; %bb.0:
	s_load_b256 s[4:11], s[0:1], 0x8
	s_bfe_u32 s2, ttmp6, 0x4000c
	s_and_b32 s3, ttmp6, 15
	s_add_co_i32 s2, s2, 1
	s_getreg_b32 s12, hwreg(HW_REG_IB_STS2, 6, 4)
	s_mul_i32 s2, ttmp9, s2
	s_load_b32 s18, s[0:1], 0x0
	s_add_co_i32 s3, s3, s2
	s_cmp_eq_u32 s12, 0
	s_cselect_b32 s2, ttmp9, s3
	s_delay_alu instid0(SALU_CYCLE_1) | instskip(SKIP_2) | instid1(SALU_CYCLE_1)
	s_ashr_i32 s3, s2, 31
	s_wait_kmcnt 0x0
	s_mul_u64 s[10:11], s[10:11], s[2:3]
	s_lshl_b64 s[10:11], s[10:11], 3
	s_delay_alu instid0(SALU_CYCLE_1)
	s_add_nc_u64 s[16:17], s[8:9], s[10:11]
	s_clause 0x1
	s_load_b128 s[8:11], s[0:1], 0x28
	s_load_b64 s[14:15], s[0:1], 0x38
	s_load_b64 s[12:13], s[16:17], 0x0
	s_cmp_lg_u32 s18, 0xe8
	s_wait_xcnt 0x0
	s_mov_b32 s0, 0
	s_cselect_b32 s1, -1, 0
	s_delay_alu instid0(SALU_CYCLE_1)
	s_and_b32 vcc_lo, exec_lo, s1
	s_cbranch_vccz .LBB17_4
; %bb.1:
	s_and_not1_b32 vcc_lo, exec_lo, s1
	s_cbranch_vccz .LBB17_5
.LBB17_2:
	s_and_not1_b32 vcc_lo, exec_lo, s0
	s_cbranch_vccz .LBB17_6
.LBB17_3:
	s_endpgm
.LBB17_4:
	s_wait_kmcnt 0x0
	v_cmp_nle_f64_e64 s0, s[12:13], s[4:5]
	v_cmp_ngt_f64_e64 s1, s[12:13], s[6:7]
	s_and_b32 s1, s0, s1
	s_mov_b32 s0, -1
	s_and_not1_b32 vcc_lo, exec_lo, s1
	s_cbranch_vccnz .LBB17_2
.LBB17_5:
	s_wait_kmcnt 0x0
	v_mov_b64_e32 v[0:1], s[12:13]
	s_mul_u64 s[0:1], s[14:15], s[2:3]
	v_dual_mov_b32 v2, 0 :: v_dual_mov_b32 v3, 1
	s_lshl_b64 s[4:5], s[2:3], 2
	s_lshl_b64 s[0:1], s[0:1], 3
	s_add_nc_u64 s[4:5], s[8:9], s[4:5]
	s_add_nc_u64 s[6:7], s[10:11], s[0:1]
	s_clause 0x1
	global_store_b32 v2, v3, s[4:5]
	global_store_b64 v2, v[0:1], s[6:7]
	s_cbranch_execnz .LBB17_3
.LBB17_6:
	s_wait_xcnt 0x0
	v_mov_b32_e32 v0, 0
	s_lshl_b64 s[0:1], s[2:3], 2
	s_wait_kmcnt 0x0
	s_add_nc_u64 s[0:1], s[8:9], s[0:1]
	global_store_b32 v0, v0, s[0:1]
	s_endpgm
	.section	.rodata,"a",@progbits
	.p2align	6, 0x0
	.amdhsa_kernel _ZN9rocsolver6v33100L19stedcx_case1_kernelIdEEv15rocblas_erange_T_S3_PS3_lPiS4_l
		.amdhsa_group_segment_fixed_size 0
		.amdhsa_private_segment_fixed_size 0
		.amdhsa_kernarg_size 64
		.amdhsa_user_sgpr_count 2
		.amdhsa_user_sgpr_dispatch_ptr 0
		.amdhsa_user_sgpr_queue_ptr 0
		.amdhsa_user_sgpr_kernarg_segment_ptr 1
		.amdhsa_user_sgpr_dispatch_id 0
		.amdhsa_user_sgpr_kernarg_preload_length 0
		.amdhsa_user_sgpr_kernarg_preload_offset 0
		.amdhsa_user_sgpr_private_segment_size 0
		.amdhsa_wavefront_size32 1
		.amdhsa_uses_dynamic_stack 0
		.amdhsa_enable_private_segment 0
		.amdhsa_system_sgpr_workgroup_id_x 1
		.amdhsa_system_sgpr_workgroup_id_y 0
		.amdhsa_system_sgpr_workgroup_id_z 0
		.amdhsa_system_sgpr_workgroup_info 0
		.amdhsa_system_vgpr_workitem_id 0
		.amdhsa_next_free_vgpr 4
		.amdhsa_next_free_sgpr 19
		.amdhsa_named_barrier_count 0
		.amdhsa_reserve_vcc 1
		.amdhsa_float_round_mode_32 0
		.amdhsa_float_round_mode_16_64 0
		.amdhsa_float_denorm_mode_32 3
		.amdhsa_float_denorm_mode_16_64 3
		.amdhsa_fp16_overflow 0
		.amdhsa_memory_ordered 1
		.amdhsa_forward_progress 1
		.amdhsa_inst_pref_size 3
		.amdhsa_round_robin_scheduling 0
		.amdhsa_exception_fp_ieee_invalid_op 0
		.amdhsa_exception_fp_denorm_src 0
		.amdhsa_exception_fp_ieee_div_zero 0
		.amdhsa_exception_fp_ieee_overflow 0
		.amdhsa_exception_fp_ieee_underflow 0
		.amdhsa_exception_fp_ieee_inexact 0
		.amdhsa_exception_int_div_zero 0
	.end_amdhsa_kernel
	.section	.text._ZN9rocsolver6v33100L19stedcx_case1_kernelIdEEv15rocblas_erange_T_S3_PS3_lPiS4_l,"axG",@progbits,_ZN9rocsolver6v33100L19stedcx_case1_kernelIdEEv15rocblas_erange_T_S3_PS3_lPiS4_l,comdat
.Lfunc_end17:
	.size	_ZN9rocsolver6v33100L19stedcx_case1_kernelIdEEv15rocblas_erange_T_S3_PS3_lPiS4_l, .Lfunc_end17-_ZN9rocsolver6v33100L19stedcx_case1_kernelIdEEv15rocblas_erange_T_S3_PS3_lPiS4_l
                                        ; -- End function
	.set _ZN9rocsolver6v33100L19stedcx_case1_kernelIdEEv15rocblas_erange_T_S3_PS3_lPiS4_l.num_vgpr, 4
	.set _ZN9rocsolver6v33100L19stedcx_case1_kernelIdEEv15rocblas_erange_T_S3_PS3_lPiS4_l.num_agpr, 0
	.set _ZN9rocsolver6v33100L19stedcx_case1_kernelIdEEv15rocblas_erange_T_S3_PS3_lPiS4_l.numbered_sgpr, 19
	.set _ZN9rocsolver6v33100L19stedcx_case1_kernelIdEEv15rocblas_erange_T_S3_PS3_lPiS4_l.num_named_barrier, 0
	.set _ZN9rocsolver6v33100L19stedcx_case1_kernelIdEEv15rocblas_erange_T_S3_PS3_lPiS4_l.private_seg_size, 0
	.set _ZN9rocsolver6v33100L19stedcx_case1_kernelIdEEv15rocblas_erange_T_S3_PS3_lPiS4_l.uses_vcc, 1
	.set _ZN9rocsolver6v33100L19stedcx_case1_kernelIdEEv15rocblas_erange_T_S3_PS3_lPiS4_l.uses_flat_scratch, 0
	.set _ZN9rocsolver6v33100L19stedcx_case1_kernelIdEEv15rocblas_erange_T_S3_PS3_lPiS4_l.has_dyn_sized_stack, 0
	.set _ZN9rocsolver6v33100L19stedcx_case1_kernelIdEEv15rocblas_erange_T_S3_PS3_lPiS4_l.has_recursion, 0
	.set _ZN9rocsolver6v33100L19stedcx_case1_kernelIdEEv15rocblas_erange_T_S3_PS3_lPiS4_l.has_indirect_call, 0
	.section	.AMDGPU.csdata,"",@progbits
; Kernel info:
; codeLenInByte = 300
; TotalNumSgprs: 21
; NumVgprs: 4
; ScratchSize: 0
; MemoryBound: 0
; FloatMode: 240
; IeeeMode: 1
; LDSByteSize: 0 bytes/workgroup (compile time only)
; SGPRBlocks: 0
; VGPRBlocks: 0
; NumSGPRsForWavesPerEU: 21
; NumVGPRsForWavesPerEU: 4
; NamedBarCnt: 0
; Occupancy: 16
; WaveLimiterHint : 0
; COMPUTE_PGM_RSRC2:SCRATCH_EN: 0
; COMPUTE_PGM_RSRC2:USER_SGPR: 2
; COMPUTE_PGM_RSRC2:TRAP_HANDLER: 0
; COMPUTE_PGM_RSRC2:TGID_X_EN: 1
; COMPUTE_PGM_RSRC2:TGID_Y_EN: 0
; COMPUTE_PGM_RSRC2:TGID_Z_EN: 0
; COMPUTE_PGM_RSRC2:TIDIG_COMP_CNT: 0
	.section	.text._ZN9rocsolver6v33100L10init_identIdPdEEviiT0_iil,"axG",@progbits,_ZN9rocsolver6v33100L10init_identIdPdEEviiT0_iil,comdat
	.globl	_ZN9rocsolver6v33100L10init_identIdPdEEviiT0_iil ; -- Begin function _ZN9rocsolver6v33100L10init_identIdPdEEviiT0_iil
	.p2align	8
	.type	_ZN9rocsolver6v33100L10init_identIdPdEEviiT0_iil,@function
_ZN9rocsolver6v33100L10init_identIdPdEEviiT0_iil: ; @_ZN9rocsolver6v33100L10init_identIdPdEEviiT0_iil
; %bb.0:
	s_clause 0x1
	s_load_b32 s5, s[0:1], 0x2c
	s_load_b64 s[2:3], s[0:1], 0x0
	s_bfe_u32 s7, ttmp6, 0x40010
	s_bfe_u32 s10, ttmp6, 0x4000c
	s_and_b32 s6, ttmp7, 0xffff
	s_add_co_i32 s7, s7, 1
	s_add_co_i32 s10, s10, 1
	s_bfe_u32 s8, ttmp6, 0x40004
	s_and_b32 s9, ttmp6, 15
	s_mul_i32 s7, s6, s7
	s_mul_i32 s10, ttmp9, s10
	s_getreg_b32 s4, hwreg(HW_REG_IB_STS2, 6, 4)
	v_and_b32_e32 v1, 0x3ff, v0
	v_bfe_u32 v0, v0, 10, 10
	s_add_co_i32 s8, s8, s7
	s_add_co_i32 s9, s9, s10
	s_wait_kmcnt 0x0
	s_lshr_b32 s7, s5, 16
	s_and_b32 s5, s5, 0xffff
	s_cmp_eq_u32 s4, 0
	s_cselect_b32 s9, ttmp9, s9
	s_cselect_b32 s6, s6, s8
	v_mad_u32 v3, s9, s5, v1
	v_mad_u32 v0, s6, s7, v0
	s_delay_alu instid0(VALU_DEP_2) | instskip(NEXT) | instid1(VALU_DEP_2)
	v_cmp_gt_u32_e32 vcc_lo, s2, v3
	v_cmp_gt_u32_e64 s2, s3, v0
	s_and_b32 s2, vcc_lo, s2
	s_delay_alu instid0(SALU_CYCLE_1)
	s_and_saveexec_b32 s3, s2
	s_cbranch_execz .LBB18_6
; %bb.1:
	s_load_b64 s[2:3], s[0:1], 0x10
	s_mov_b32 s5, exec_lo
                                        ; implicit-def: $vgpr2
	v_cmpx_ne_u32_e64 v3, v0
	s_xor_b32 s5, exec_lo, s5
	s_cbranch_execz .LBB18_3
; %bb.2:
	s_wait_kmcnt 0x0
	v_mad_u32 v2, v0, s3, v3
                                        ; implicit-def: $vgpr3
.LBB18_3:
	s_or_saveexec_b32 s5, s5
	v_mov_b64_e32 v[0:1], 0
	s_xor_b32 exec_lo, exec_lo, s5
	s_cbranch_execz .LBB18_5
; %bb.4:
	s_wait_kmcnt 0x0
	v_mad_u32 v2, v3, s3, v3
	v_mov_b64_e32 v[0:1], 1.0
.LBB18_5:
	s_or_b32 exec_lo, exec_lo, s5
	s_clause 0x1
	s_load_b64 s[6:7], s[0:1], 0x18
	s_load_b64 s[8:9], s[0:1], 0x8
	s_wait_xcnt 0x0
	s_bfe_u32 s0, ttmp6, 0x40014
	s_lshr_b32 s5, ttmp7, 16
	s_add_co_i32 s0, s0, 1
	s_bfe_u32 s1, ttmp6, 0x40008
	s_mul_i32 s0, s5, s0
	s_wait_kmcnt 0x0
	s_ashr_i32 s3, s2, 31
	s_add_co_i32 s0, s1, s0
	s_cmp_eq_u32 s4, 0
	s_mov_b32 s1, 0
	s_cselect_b32 s0, s5, s0
	s_lshl_b64 s[2:3], s[2:3], 3
	s_mul_u64 s[0:1], s[6:7], s[0:1]
	s_delay_alu instid0(SALU_CYCLE_1) | instskip(NEXT) | instid1(SALU_CYCLE_1)
	s_lshl_b64 s[0:1], s[0:1], 3
	s_add_nc_u64 s[0:1], s[8:9], s[0:1]
	s_delay_alu instid0(SALU_CYCLE_1)
	s_add_nc_u64 s[0:1], s[0:1], s[2:3]
	global_store_b64 v2, v[0:1], s[0:1] scale_offset
.LBB18_6:
	s_endpgm
	.section	.rodata,"a",@progbits
	.p2align	6, 0x0
	.amdhsa_kernel _ZN9rocsolver6v33100L10init_identIdPdEEviiT0_iil
		.amdhsa_group_segment_fixed_size 0
		.amdhsa_private_segment_fixed_size 0
		.amdhsa_kernarg_size 288
		.amdhsa_user_sgpr_count 2
		.amdhsa_user_sgpr_dispatch_ptr 0
		.amdhsa_user_sgpr_queue_ptr 0
		.amdhsa_user_sgpr_kernarg_segment_ptr 1
		.amdhsa_user_sgpr_dispatch_id 0
		.amdhsa_user_sgpr_kernarg_preload_length 0
		.amdhsa_user_sgpr_kernarg_preload_offset 0
		.amdhsa_user_sgpr_private_segment_size 0
		.amdhsa_wavefront_size32 1
		.amdhsa_uses_dynamic_stack 0
		.amdhsa_enable_private_segment 0
		.amdhsa_system_sgpr_workgroup_id_x 1
		.amdhsa_system_sgpr_workgroup_id_y 1
		.amdhsa_system_sgpr_workgroup_id_z 1
		.amdhsa_system_sgpr_workgroup_info 0
		.amdhsa_system_vgpr_workitem_id 1
		.amdhsa_next_free_vgpr 4
		.amdhsa_next_free_sgpr 11
		.amdhsa_named_barrier_count 0
		.amdhsa_reserve_vcc 1
		.amdhsa_float_round_mode_32 0
		.amdhsa_float_round_mode_16_64 0
		.amdhsa_float_denorm_mode_32 3
		.amdhsa_float_denorm_mode_16_64 3
		.amdhsa_fp16_overflow 0
		.amdhsa_memory_ordered 1
		.amdhsa_forward_progress 1
		.amdhsa_inst_pref_size 3
		.amdhsa_round_robin_scheduling 0
		.amdhsa_exception_fp_ieee_invalid_op 0
		.amdhsa_exception_fp_denorm_src 0
		.amdhsa_exception_fp_ieee_div_zero 0
		.amdhsa_exception_fp_ieee_overflow 0
		.amdhsa_exception_fp_ieee_underflow 0
		.amdhsa_exception_fp_ieee_inexact 0
		.amdhsa_exception_int_div_zero 0
	.end_amdhsa_kernel
	.section	.text._ZN9rocsolver6v33100L10init_identIdPdEEviiT0_iil,"axG",@progbits,_ZN9rocsolver6v33100L10init_identIdPdEEviiT0_iil,comdat
.Lfunc_end18:
	.size	_ZN9rocsolver6v33100L10init_identIdPdEEviiT0_iil, .Lfunc_end18-_ZN9rocsolver6v33100L10init_identIdPdEEviiT0_iil
                                        ; -- End function
	.set _ZN9rocsolver6v33100L10init_identIdPdEEviiT0_iil.num_vgpr, 4
	.set _ZN9rocsolver6v33100L10init_identIdPdEEviiT0_iil.num_agpr, 0
	.set _ZN9rocsolver6v33100L10init_identIdPdEEviiT0_iil.numbered_sgpr, 11
	.set _ZN9rocsolver6v33100L10init_identIdPdEEviiT0_iil.num_named_barrier, 0
	.set _ZN9rocsolver6v33100L10init_identIdPdEEviiT0_iil.private_seg_size, 0
	.set _ZN9rocsolver6v33100L10init_identIdPdEEviiT0_iil.uses_vcc, 1
	.set _ZN9rocsolver6v33100L10init_identIdPdEEviiT0_iil.uses_flat_scratch, 0
	.set _ZN9rocsolver6v33100L10init_identIdPdEEviiT0_iil.has_dyn_sized_stack, 0
	.set _ZN9rocsolver6v33100L10init_identIdPdEEviiT0_iil.has_recursion, 0
	.set _ZN9rocsolver6v33100L10init_identIdPdEEviiT0_iil.has_indirect_call, 0
	.section	.AMDGPU.csdata,"",@progbits
; Kernel info:
; codeLenInByte = 372
; TotalNumSgprs: 13
; NumVgprs: 4
; ScratchSize: 0
; MemoryBound: 0
; FloatMode: 240
; IeeeMode: 1
; LDSByteSize: 0 bytes/workgroup (compile time only)
; SGPRBlocks: 0
; VGPRBlocks: 0
; NumSGPRsForWavesPerEU: 13
; NumVGPRsForWavesPerEU: 4
; NamedBarCnt: 0
; Occupancy: 16
; WaveLimiterHint : 0
; COMPUTE_PGM_RSRC2:SCRATCH_EN: 0
; COMPUTE_PGM_RSRC2:USER_SGPR: 2
; COMPUTE_PGM_RSRC2:TRAP_HANDLER: 0
; COMPUTE_PGM_RSRC2:TGID_X_EN: 1
; COMPUTE_PGM_RSRC2:TGID_Y_EN: 1
; COMPUTE_PGM_RSRC2:TGID_Z_EN: 1
; COMPUTE_PGM_RSRC2:TIDIG_COMP_CNT: 1
	.section	.text._ZN9rocsolver6v33100L19stedcx_split_kernelIdEEv15rocblas_erange_iT_S3_iiPS3_lS4_lS4_lPiS4_S3_S3_,"axG",@progbits,_ZN9rocsolver6v33100L19stedcx_split_kernelIdEEv15rocblas_erange_iT_S3_iiPS3_lS4_lS4_lPiS4_S3_S3_,comdat
	.globl	_ZN9rocsolver6v33100L19stedcx_split_kernelIdEEv15rocblas_erange_iT_S3_iiPS3_lS4_lS4_lPiS4_S3_S3_ ; -- Begin function _ZN9rocsolver6v33100L19stedcx_split_kernelIdEEv15rocblas_erange_iT_S3_iiPS3_lS4_lS4_lPiS4_S3_S3_
	.p2align	8
	.type	_ZN9rocsolver6v33100L19stedcx_split_kernelIdEEv15rocblas_erange_iT_S3_iiPS3_lS4_lS4_lPiS4_S3_S3_,@function
_ZN9rocsolver6v33100L19stedcx_split_kernelIdEEv15rocblas_erange_iT_S3_iiPS3_lS4_lS4_lPiS4_S3_S3_: ; @_ZN9rocsolver6v33100L19stedcx_split_kernelIdEEv15rocblas_erange_iT_S3_iiPS3_lS4_lS4_lPiS4_S3_S3_
; %bb.0:
	s_clause 0x1
	s_load_b512 s[8:23], s[0:1], 0x20
	s_load_b64 s[6:7], s[0:1], 0x0
	s_bfe_u32 s2, ttmp6, 0x40010
	s_bfe_u32 s3, ttmp6, 0x40004
	s_add_co_i32 s2, s2, 1
	s_getreg_b32 s4, hwreg(HW_REG_IB_STS2, 6, 4)
	s_mul_i32 s2, ttmp7, s2
	v_lshlrev_b32_e32 v2, 3, v0
	s_add_co_i32 s3, s3, s2
	s_cmp_eq_u32 s4, 0
	s_cselect_b32 s28, ttmp7, s3
	s_mov_b32 s3, 0
	s_ashr_i32 s29, s28, 31
	s_wait_kmcnt 0x0
	s_mul_u64 s[40:41], s[10:11], s[28:29]
	s_ashr_i32 s11, s7, 31
	s_lshl_b32 s33, s7, 2
	v_cmp_gt_i32_e32 vcc_lo, s7, v0
	s_cmp_eq_u32 s6, 0xe9
	s_mov_b32 s10, s7
	s_cselect_b32 s46, -1, 0
	s_delay_alu instid0(SALU_CYCLE_1) | instskip(NEXT) | instid1(SALU_CYCLE_1)
	s_and_b32 s2, s46, vcc_lo
	s_and_saveexec_b32 s24, s2
	s_cbranch_execz .LBB19_3
; %bb.1:
	s_add_co_i32 s2, s33, 2
	s_load_b32 s25, s[0:1], 0x7c
	s_mul_i32 s4, s28, s2
	s_lshl_b64 s[26:27], s[10:11], 3
	s_ashr_i32 s5, s4, 31
	v_dual_mov_b32 v3, 0 :: v_dual_mov_b32 v1, v0
	s_lshl_b64 s[4:5], s[4:5], 3
	s_delay_alu instid0(SALU_CYCLE_1) | instskip(SKIP_2) | instid1(SALU_CYCLE_1)
	s_add_nc_u64 s[4:5], s[26:27], s[4:5]
	s_mov_b32 s26, s3
	s_add_nc_u64 s[4:5], s[22:23], s[4:5]
	v_add_nc_u64_e32 v[4:5], s[4:5], v[2:3]
	s_lshl_b64 s[4:5], s[40:41], 3
	s_delay_alu instid0(SALU_CYCLE_1) | instskip(NEXT) | instid1(SALU_CYCLE_1)
	s_add_nc_u64 s[4:5], s[8:9], s[4:5]
	v_add_nc_u64_e32 v[6:7], s[4:5], v[2:3]
	s_mov_b64 s[4:5], 0
	s_delay_alu instid0(VALU_DEP_2) | instskip(SKIP_2) | instid1(SALU_CYCLE_1)
	v_add_nc_u64_e32 v[4:5], 16, v[4:5]
	s_wait_kmcnt 0x0
	s_and_b32 s25, s25, 0xffff
	s_lshl_b32 s2, s25, 3
.LBB19_2:                               ; =>This Inner Loop Header: Depth=1
	s_delay_alu instid0(VALU_DEP_2) | instskip(SKIP_1) | instid1(VALU_DEP_3)
	v_add_nc_u64_e32 v[8:9], s[4:5], v[6:7]
	v_add_nc_u32_e32 v1, s25, v1
	v_add_nc_u64_e32 v[10:11], s[4:5], v[4:5]
	s_add_nc_u64 s[4:5], s[4:5], s[2:3]
	s_delay_alu instid0(VALU_DEP_2)
	v_cmp_le_i32_e32 vcc_lo, s7, v1
	global_load_b64 v[8:9], v[8:9], off
	s_or_b32 s26, vcc_lo, s26
	s_wait_loadcnt 0x0
	global_store_b64 v[10:11], v[8:9], off
	s_wait_xcnt 0x0
	s_and_not1_b32 exec_lo, exec_lo, s26
	s_cbranch_execnz .LBB19_2
.LBB19_3:
	s_or_b32 exec_lo, exec_lo, s24
	s_add_co_i32 s48, s7, -1
	v_dual_mov_b32 v4, 0 :: v_dual_lshlrev_b32 v1, 2, v0
	s_ashr_i32 s2, s48, 31
	v_mov_b32_e32 v6, 0
	s_lshr_b32 s2, s2, 24
	s_mov_b32 s24, -1
	s_add_co_i32 s2, s48, s2
	s_delay_alu instid0(SALU_CYCLE_1) | instskip(SKIP_2) | instid1(SALU_CYCLE_1)
	s_and_b32 s3, s2, 0xffffff00
	s_ashr_i32 s2, s2, 8
	s_sub_co_i32 s3, s48, s3
	v_cmp_gt_i32_e32 vcc_lo, s3, v0
	v_add_co_ci_u32_e64 v3, null, s2, 0, vcc_lo
	v_cmp_eq_u32_e64 s2, 0, v0
	v_cmp_ne_u32_e32 vcc_lo, 0, v0
	ds_store_b32 v1, v3 offset:2048
	s_wait_storecnt_dscnt 0x0
	s_barrier_signal -1
	s_barrier_wait -1
	s_and_saveexec_b32 s4, vcc_lo
	s_cbranch_execz .LBB19_19
; %bb.4:
	v_dual_mov_b32 v6, 0 :: v_dual_mov_b32 v5, 0
	s_mov_b32 s5, exec_lo
	v_cmpx_lt_u32_e32 3, v0
	s_cbranch_execz .LBB19_14
; %bb.5:
	v_dual_add_nc_u32 v5, -4, v0 :: v_dual_mov_b32 v11, 0
	v_mov_b64_e32 v[6:7], 0
	v_mov_b64_e32 v[8:9], 0
	s_delay_alu instid0(VALU_DEP_3) | instskip(SKIP_1) | instid1(VALU_DEP_2)
	v_lshrrev_b32_e32 v10, 2, v5
	v_cmp_lt_u32_e64 s3, 27, v5
	v_add_nc_u32_e32 v5, 1, v10
	s_and_saveexec_b32 s24, s3
	s_cbranch_execz .LBB19_9
; %bb.6:
	s_delay_alu instid0(VALU_DEP_1)
	v_and_b32_e32 v10, 0x7ffffff8, v5
	v_dual_mov_b32 v9, 0 :: v_dual_mov_b32 v8, 0
	v_dual_mov_b32 v7, 0 :: v_dual_mov_b32 v6, 0
	s_movk_i32 s26, 0x800
	s_mov_b32 s25, 0
	s_mov_b32 s27, 0
.LBB19_7:                               ; =>This Inner Loop Header: Depth=1
	v_mov_b32_e32 v11, s26
	s_add_co_i32 s27, s27, 32
	s_addk_co_i32 s26, 0x80
	ds_load_b128 v[12:15], v11
	ds_load_b128 v[16:19], v11 offset:16
	ds_load_b128 v[20:23], v11 offset:32
	;; [unrolled: 1-line block ×4, first 2 shown]
	s_wait_dscnt 0x4
	v_dual_add_nc_u32 v13, v13, v9 :: v_dual_add_nc_u32 v12, v12, v8
	v_dual_add_nc_u32 v15, v15, v7 :: v_dual_add_nc_u32 v14, v14, v6
	ds_load_b128 v[6:9], v11 offset:80
	s_wait_dscnt 0x4
	v_dual_add_nc_u32 v17, v17, v13 :: v_dual_add_nc_u32 v16, v16, v12
	v_dual_add_nc_u32 v19, v19, v15 :: v_dual_add_nc_u32 v18, v18, v14
	ds_load_b128 v[12:15], v11 offset:96
	;; [unrolled: 4-line block ×3, first 2 shown]
	s_wait_dscnt 0x4
	v_dual_add_nc_u32 v11, v25, v21 :: v_dual_add_nc_u32 v20, v24, v20
	v_dual_add_nc_u32 v21, v27, v23 :: v_dual_add_nc_u32 v22, v26, v22
	s_wait_dscnt 0x3
	s_delay_alu instid0(VALU_DEP_2) | instskip(NEXT) | instid1(VALU_DEP_2)
	v_dual_add_nc_u32 v11, v29, v11 :: v_dual_add_nc_u32 v20, v28, v20
	v_dual_add_nc_u32 v21, v31, v21 :: v_dual_add_nc_u32 v22, v30, v22
	s_wait_dscnt 0x2
	s_delay_alu instid0(VALU_DEP_2) | instskip(NEXT) | instid1(VALU_DEP_2)
	v_dual_add_nc_u32 v10, -8, v10 :: v_dual_add_nc_u32 v7, v7, v11
	v_dual_add_nc_u32 v6, v6, v20 :: v_dual_add_nc_u32 v9, v9, v21
	s_delay_alu instid0(VALU_DEP_3) | instskip(SKIP_1) | instid1(VALU_DEP_2)
	v_dual_mov_b32 v11, s27 :: v_dual_add_nc_u32 v8, v8, v22
	s_wait_dscnt 0x1
	v_dual_add_nc_u32 v7, v13, v7 :: v_dual_add_nc_u32 v6, v12, v6
	s_delay_alu instid0(VALU_DEP_2) | instskip(SKIP_2) | instid1(VALU_DEP_3)
	v_dual_add_nc_u32 v12, v15, v9 :: v_dual_add_nc_u32 v13, v14, v8
	v_cmp_eq_u32_e64 s3, 0, v10
	s_wait_dscnt 0x0
	v_dual_add_nc_u32 v9, v17, v7 :: v_dual_add_nc_u32 v8, v16, v6
	s_delay_alu instid0(VALU_DEP_3) | instskip(SKIP_1) | instid1(SALU_CYCLE_1)
	v_dual_add_nc_u32 v7, v19, v12 :: v_dual_add_nc_u32 v6, v18, v13
	s_or_b32 s25, s3, s25
	s_and_not1_b32 exec_lo, exec_lo, s25
	s_cbranch_execnz .LBB19_7
; %bb.8:
	s_or_b32 exec_lo, exec_lo, s25
.LBB19_9:
	s_delay_alu instid0(SALU_CYCLE_1) | instskip(NEXT) | instid1(VALU_DEP_1)
	s_or_b32 exec_lo, exec_lo, s24
	v_and_b32_e32 v5, 7, v5
	s_mov_b32 s25, 0
	s_mov_b32 s24, exec_lo
	s_delay_alu instid0(VALU_DEP_1)
	v_cmpx_ne_u32_e32 0, v5
	s_cbranch_execz .LBB19_13
; %bb.10:
	v_lshl_add_u32 v10, v11, 2, 0x800
.LBB19_11:                              ; =>This Inner Loop Header: Depth=1
	ds_load_b128 v[12:15], v10
	v_dual_add_nc_u32 v5, -1, v5 :: v_dual_add_nc_u32 v10, 16, v10
	s_delay_alu instid0(VALU_DEP_1)
	v_cmp_eq_u32_e64 s3, 0, v5
	s_or_b32 s25, s3, s25
	s_wait_dscnt 0x0
	v_dual_add_nc_u32 v9, v13, v9 :: v_dual_add_nc_u32 v8, v12, v8
	v_dual_add_nc_u32 v7, v15, v7 :: v_dual_add_nc_u32 v6, v14, v6
	s_and_not1_b32 exec_lo, exec_lo, s25
	s_cbranch_execnz .LBB19_11
; %bb.12:
	s_or_b32 exec_lo, exec_lo, s25
.LBB19_13:
	s_delay_alu instid0(SALU_CYCLE_1) | instskip(SKIP_2) | instid1(VALU_DEP_2)
	s_or_b32 exec_lo, exec_lo, s24
	v_and_b32_e32 v5, 0xfc, v0
	v_add_nc_u32_e32 v7, v7, v9
	v_cmp_ne_u32_e64 s3, v0, v5
	s_delay_alu instid0(VALU_DEP_2)
	v_add3_u32 v6, v6, v8, v7
	s_or_not1_b32 s24, s3, exec_lo
.LBB19_14:
	s_or_b32 exec_lo, exec_lo, s5
	s_and_saveexec_b32 s5, s24
	s_cbranch_execz .LBB19_18
; %bb.15:
	v_sub_nc_u32_e32 v7, v0, v5
	v_lshl_or_b32 v5, v5, 2, 0x800
	s_mov_b32 s24, 0
.LBB19_16:                              ; =>This Inner Loop Header: Depth=1
	ds_load_b32 v8, v5
	v_dual_add_nc_u32 v7, -1, v7 :: v_dual_add_nc_u32 v5, 4, v5
	s_delay_alu instid0(VALU_DEP_1)
	v_cmp_eq_u32_e64 s3, 0, v7
	s_or_b32 s24, s3, s24
	s_wait_dscnt 0x0
	v_add_nc_u32_e32 v6, v8, v6
	s_and_not1_b32 exec_lo, exec_lo, s24
	s_cbranch_execnz .LBB19_16
; %bb.17:
	s_or_b32 exec_lo, exec_lo, s24
.LBB19_18:
	s_delay_alu instid0(SALU_CYCLE_1)
	s_or_b32 exec_lo, exec_lo, s5
.LBB19_19:
	s_delay_alu instid0(SALU_CYCLE_1)
	s_or_b32 exec_lo, exec_lo, s4
	s_load_b128 s[24:27], s[0:1], 0x60
	s_mul_i32 s3, s7, 5
	s_lshl_b32 s36, s7, 1
	s_add_co_i32 s3, s3, 2
	s_lshl_b64 s[34:35], s[10:11], 2
	s_mul_i32 s4, s3, s28
	s_ashr_i32 s37, s36, 31
	s_ashr_i32 s5, s4, 31
	v_ashrrev_i32_e32 v7, 31, v6
	s_lshl_b64 s[30:31], s[4:5], 2
	s_lshl_b64 s[44:45], s[36:37], 2
	s_add_nc_u64 s[4:5], s[20:21], s[30:31]
	s_mul_u64 s[42:43], s[18:19], s[28:29]
	s_add_nc_u64 s[38:39], s[4:5], s[34:35]
	s_mov_b32 s47, exec_lo
	s_add_nc_u64 s[18:19], s[38:39], s[44:45]
	v_cmpx_lt_i32_e32 0, v3
	s_cbranch_execz .LBB19_25
; %bb.20:
	s_add_co_i32 s3, s33, 2
	v_lshlrev_b64_e32 v[4:5], 3, v[6:7]
	s_mul_i32 s50, s28, s3
	s_mul_u64 s[14:15], s[14:15], s[28:29]
	s_ashr_i32 s51, s50, 31
	s_lshl_b64 s[52:53], s[40:41], 3
	s_lshl_b64 s[50:51], s[50:51], 3
	;; [unrolled: 1-line block ×3, first 2 shown]
	s_add_nc_u64 s[50:51], s[22:23], s[50:51]
	s_lshl_b64 s[14:15], s[14:15], 3
	v_add_nc_u64_e32 v[14:15], s[50:51], v[4:5]
	s_add_nc_u64 s[50:51], s[8:9], s[52:53]
	s_add_nc_u64 s[12:13], s[12:13], s[14:15]
	;; [unrolled: 1-line block ×3, first 2 shown]
	v_add_nc_u64_e32 v[10:11], s[12:13], v[4:5]
	v_add_nc_u64_e32 v[12:13], s[50:51], v[4:5]
	;; [unrolled: 1-line block ×4, first 2 shown]
	v_lshl_add_u64 v[8:9], v[6:7], 2, s[18:19]
	v_dual_mov_b32 v4, 0 :: v_dual_mov_b32 v22, v6
	s_mov_b32 s12, 0
	s_branch .LBB19_22
.LBB19_21:                              ;   in Loop: Header=BB19_22 Depth=1
	s_wait_xcnt 0x0
	s_or_b32 exec_lo, exec_lo, s13
	v_dual_add_nc_u32 v3, -1, v3 :: v_dual_add_nc_u32 v22, 1, v22
	global_store_b64 v[14:15], v[20:21], off
	global_store_b64 v[16:17], v[18:19], off
	s_wait_xcnt 0x1
	v_add_nc_u64_e32 v[14:15], 8, v[14:15]
	v_add_nc_u64_e32 v[10:11], 8, v[10:11]
	;; [unrolled: 1-line block ×3, first 2 shown]
	v_cmp_eq_u32_e64 s3, 0, v3
	s_wait_xcnt 0x0
	v_add_nc_u64_e32 v[16:17], 8, v[16:17]
	s_or_b32 s12, s3, s12
	s_delay_alu instid0(SALU_CYCLE_1)
	s_and_not1_b32 exec_lo, exec_lo, s12
	s_cbranch_execz .LBB19_24
.LBB19_22:                              ; =>This Inner Loop Header: Depth=1
	global_load_b128 v[24:27], v[12:13], off
	global_load_b64 v[18:19], v[10:11], off
	s_mov_b32 s13, exec_lo
	s_wait_loadcnt 0x1
	v_mul_f64_e32 v[20:21], v[24:25], v[26:27]
	s_wait_kmcnt 0x0
	s_delay_alu instid0(VALU_DEP_1) | instskip(SKIP_2) | instid1(VALU_DEP_2)
	v_mul_f64_e64 v[24:25], s[24:25], |v[20:21]|
	s_wait_loadcnt 0x0
	v_mul_f64_e32 v[20:21], v[18:19], v[18:19]
	v_fma_f64 v[24:25], s[24:25], v[24:25], s[26:27]
	s_wait_xcnt 0x0
	s_delay_alu instid0(VALU_DEP_1)
	v_cmpx_gt_f64_e32 v[24:25], v[20:21]
	s_cbranch_execz .LBB19_21
; %bb.23:                               ;   in Loop: Header=BB19_22 Depth=1
	v_dual_ashrrev_i32 v5, 31, v4 :: v_dual_add_nc_u32 v23, 1, v4
	v_mov_b64_e32 v[20:21], 0
	v_mov_b64_e32 v[18:19], 0
	s_delay_alu instid0(VALU_DEP_3) | instskip(NEXT) | instid1(VALU_DEP_4)
	v_lshl_add_u64 v[24:25], v[4:5], 2, v[8:9]
	v_mov_b32_e32 v4, v23
	global_store_b32 v[24:25], v22, off offset:8
	s_branch .LBB19_21
.LBB19_24:
	s_or_b32 exec_lo, exec_lo, s12
.LBB19_25:
	s_delay_alu instid0(SALU_CYCLE_1)
	s_or_b32 exec_lo, exec_lo, s47
	v_or_b32_e32 v1, 0x800, v1
	v_mov_b32_e32 v8, 1
	ds_store_b32 v1, v4
	s_wait_storecnt_dscnt 0x0
	s_barrier_signal -1
	s_barrier_wait -1
	s_and_saveexec_b32 s3, vcc_lo
	s_cbranch_execz .LBB19_41
; %bb.26:
	v_dual_mov_b32 v3, 0 :: v_dual_mov_b32 v8, 1
	s_mov_b32 s13, -1
	s_mov_b32 s12, exec_lo
	v_cmpx_lt_u32_e32 3, v0
	s_cbranch_execz .LBB19_36
; %bb.27:
	v_dual_mov_b32 v12, 0 :: v_dual_add_nc_u32 v3, -4, v0
	v_mov_b64_e32 v[8:9], 1
	v_mov_b64_e32 v[10:11], 0
	s_delay_alu instid0(VALU_DEP_3) | instskip(SKIP_1) | instid1(VALU_DEP_2)
	v_lshrrev_b32_e32 v5, 2, v3
	v_cmp_lt_u32_e32 vcc_lo, 27, v3
	v_add_nc_u32_e32 v3, 1, v5
	s_and_saveexec_b32 s13, vcc_lo
	s_cbranch_execz .LBB19_31
; %bb.28:
	s_delay_alu instid0(VALU_DEP_1)
	v_and_b32_e32 v5, 0x7ffffff8, v3
	v_dual_mov_b32 v9, 0 :: v_dual_mov_b32 v8, 1
	v_dual_mov_b32 v11, 0 :: v_dual_mov_b32 v10, 0
	s_movk_i32 s15, 0x800
	s_mov_b32 s14, 0
	s_mov_b32 s29, 0
.LBB19_29:                              ; =>This Inner Loop Header: Depth=1
	v_mov_b32_e32 v32, s15
	s_add_co_i32 s29, s29, 32
	s_addk_co_i32 s15, 0x80
	ds_load_b128 v[12:15], v32
	ds_load_b128 v[16:19], v32 offset:16
	ds_load_b128 v[20:23], v32 offset:32
	;; [unrolled: 1-line block ×4, first 2 shown]
	v_add_nc_u32_e32 v5, -8, v5
	s_delay_alu instid0(VALU_DEP_1)
	v_cmp_eq_u32_e32 vcc_lo, 0, v5
	s_or_b32 s14, vcc_lo, s14
	s_wait_dscnt 0x4
	v_dual_add_nc_u32 v13, v13, v9 :: v_dual_add_nc_u32 v12, v12, v8
	v_dual_add_nc_u32 v15, v15, v11 :: v_dual_add_nc_u32 v14, v14, v10
	ds_load_b128 v[8:11], v32 offset:80
	s_wait_dscnt 0x4
	v_dual_add_nc_u32 v13, v17, v13 :: v_dual_add_nc_u32 v12, v16, v12
	v_dual_add_nc_u32 v19, v19, v15 :: v_dual_add_nc_u32 v18, v18, v14
	ds_load_b128 v[14:17], v32 offset:96
	;; [unrolled: 4-line block ×3, first 2 shown]
	s_wait_dscnt 0x4
	v_dual_add_nc_u32 v13, v25, v13 :: v_dual_add_nc_u32 v12, v24, v12
	v_dual_add_nc_u32 v23, v27, v23 :: v_dual_add_nc_u32 v22, v26, v22
	s_wait_dscnt 0x3
	s_delay_alu instid0(VALU_DEP_2) | instskip(NEXT) | instid1(VALU_DEP_2)
	v_dual_add_nc_u32 v13, v29, v13 :: v_dual_add_nc_u32 v12, v28, v12
	v_dual_add_nc_u32 v23, v31, v23 :: v_dual_add_nc_u32 v22, v30, v22
	s_wait_dscnt 0x2
	s_delay_alu instid0(VALU_DEP_2) | instskip(NEXT) | instid1(VALU_DEP_2)
	;; [unrolled: 4-line block ×3, first 2 shown]
	v_dual_mov_b32 v12, s29 :: v_dual_add_nc_u32 v9, v15, v9
	v_dual_add_nc_u32 v8, v14, v8 :: v_dual_add_nc_u32 v11, v17, v11
	s_wait_dscnt 0x0
	s_delay_alu instid0(VALU_DEP_2) | instskip(NEXT) | instid1(VALU_DEP_2)
	v_dual_add_nc_u32 v10, v16, v10 :: v_dual_add_nc_u32 v9, v19, v9
	v_dual_add_nc_u32 v8, v18, v8 :: v_dual_add_nc_u32 v11, v21, v11
	s_delay_alu instid0(VALU_DEP_2)
	v_add_nc_u32_e32 v10, v20, v10
	s_and_not1_b32 exec_lo, exec_lo, s14
	s_cbranch_execnz .LBB19_29
; %bb.30:
	s_or_b32 exec_lo, exec_lo, s14
.LBB19_31:
	s_delay_alu instid0(SALU_CYCLE_1) | instskip(NEXT) | instid1(VALU_DEP_1)
	s_or_b32 exec_lo, exec_lo, s13
	v_and_b32_e32 v3, 7, v3
	s_mov_b32 s14, 0
	s_mov_b32 s13, exec_lo
	s_delay_alu instid0(VALU_DEP_1)
	v_cmpx_ne_u32_e32 0, v3
	s_cbranch_execz .LBB19_35
; %bb.32:
	v_lshl_add_u32 v5, v12, 2, 0x800
.LBB19_33:                              ; =>This Inner Loop Header: Depth=1
	ds_load_b128 v[12:15], v5
	v_dual_add_nc_u32 v3, -1, v3 :: v_dual_add_nc_u32 v5, 16, v5
	s_delay_alu instid0(VALU_DEP_1)
	v_cmp_eq_u32_e32 vcc_lo, 0, v3
	s_or_b32 s14, vcc_lo, s14
	s_wait_dscnt 0x0
	v_dual_add_nc_u32 v9, v13, v9 :: v_dual_add_nc_u32 v8, v12, v8
	v_dual_add_nc_u32 v11, v15, v11 :: v_dual_add_nc_u32 v10, v14, v10
	s_and_not1_b32 exec_lo, exec_lo, s14
	s_cbranch_execnz .LBB19_33
; %bb.34:
	s_or_b32 exec_lo, exec_lo, s14
.LBB19_35:
	s_delay_alu instid0(SALU_CYCLE_1) | instskip(SKIP_2) | instid1(VALU_DEP_2)
	s_or_b32 exec_lo, exec_lo, s13
	v_and_b32_e32 v3, 0xfc, v0
	v_add_nc_u32_e32 v5, v11, v9
	v_cmp_ne_u32_e32 vcc_lo, v0, v3
	s_delay_alu instid0(VALU_DEP_2)
	v_add3_u32 v8, v10, v8, v5
	s_or_not1_b32 s13, vcc_lo, exec_lo
.LBB19_36:
	s_or_b32 exec_lo, exec_lo, s12
	s_and_saveexec_b32 s12, s13
	s_cbranch_execz .LBB19_40
; %bb.37:
	v_sub_nc_u32_e32 v5, v0, v3
	v_lshl_or_b32 v3, v3, 2, 0x800
	s_mov_b32 s13, 0
.LBB19_38:                              ; =>This Inner Loop Header: Depth=1
	ds_load_b32 v9, v3
	v_dual_add_nc_u32 v5, -1, v5 :: v_dual_add_nc_u32 v3, 4, v3
	s_delay_alu instid0(VALU_DEP_1)
	v_cmp_eq_u32_e32 vcc_lo, 0, v5
	s_or_b32 s13, vcc_lo, s13
	s_wait_dscnt 0x0
	v_add_nc_u32_e32 v8, v9, v8
	s_and_not1_b32 exec_lo, exec_lo, s13
	s_cbranch_execnz .LBB19_38
; %bb.39:
	s_or_b32 exec_lo, exec_lo, s13
.LBB19_40:
	s_delay_alu instid0(SALU_CYCLE_1)
	s_or_b32 exec_lo, exec_lo, s12
.LBB19_41:
	s_delay_alu instid0(SALU_CYCLE_1)
	s_or_b32 exec_lo, exec_lo, s3
	s_mov_b32 s12, 0
	s_mov_b32 s3, exec_lo
	v_cmpx_lt_i32_e32 0, v4
	s_cbranch_execz .LBB19_44
; %bb.42:
	s_add_nc_u64 s[14:15], s[20:21], s[44:45]
	v_dual_ashrrev_i32 v9, 31, v8 :: v_dual_mov_b32 v3, v4
	s_add_nc_u64 s[14:15], s[14:15], s[30:31]
	s_delay_alu instid0(SALU_CYCLE_1) | instskip(NEXT) | instid1(VALU_DEP_1)
	s_add_nc_u64 s[14:15], s[14:15], s[34:35]
	v_lshl_add_u64 v[10:11], v[8:9], 2, s[4:5]
	v_lshl_add_u64 v[6:7], v[6:7], 2, s[14:15]
	s_delay_alu instid0(VALU_DEP_1)
	v_add_nc_u64_e32 v[6:7], 8, v[6:7]
.LBB19_43:                              ; =>This Inner Loop Header: Depth=1
	global_load_b32 v5, v[6:7], off
	v_add_nc_u32_e32 v3, -1, v3
	s_wait_xcnt 0x0
	v_add_nc_u64_e32 v[6:7], 4, v[6:7]
	s_wait_loadcnt 0x0
	v_add_nc_u32_e32 v5, 1, v5
	v_cmp_eq_u32_e32 vcc_lo, 0, v3
	global_store_b32 v[10:11], v5, off
	s_wait_xcnt 0x0
	v_add_nc_u64_e32 v[10:11], 4, v[10:11]
	s_or_b32 s12, vcc_lo, s12
	s_delay_alu instid0(SALU_CYCLE_1)
	s_and_not1_b32 exec_lo, exec_lo, s12
	s_cbranch_execnz .LBB19_43
.LBB19_44:
	s_or_b32 exec_lo, exec_lo, s3
	v_cmp_eq_u32_e64 s3, 0xff, v0
	s_and_saveexec_b32 s12, s3
	s_cbranch_execz .LBB19_46
; %bb.45:
	v_dual_mov_b32 v4, s7 :: v_dual_add_nc_u32 v3, v8, v4
	v_mov_b32_e32 v5, 0
	s_clause 0x2
	global_store_b32 v3, v4, s[4:5] scale_offset
	global_store_b32 v5, v5, s[4:5]
	global_store_b32 v5, v3, s[38:39] offset:4
.LBB19_46:
	s_wait_xcnt 0x0
	s_or_b32 exec_lo, exec_lo, s12
	v_mov_b64_e32 v[4:5], 0
	v_bfrev_b32_e32 v3, -2
	s_mov_b32 s5, exec_lo
	s_wait_storecnt 0x0
	s_barrier_signal -1
	s_barrier_wait -1
	v_cmpx_gt_i32_e64 s48, v0
	s_cbranch_execz .LBB19_50
; %bb.47:
	s_add_co_i32 s4, s33, 2
	v_dual_mov_b32 v3, 0 :: v_dual_mov_b32 v8, v0
	s_mul_i32 s12, s28, s4
	s_delay_alu instid0(SALU_CYCLE_1) | instskip(NEXT) | instid1(SALU_CYCLE_1)
	s_ashr_i32 s13, s12, 31
	s_lshl_b64 s[12:13], s[12:13], 3
	s_delay_alu instid0(SALU_CYCLE_1) | instskip(NEXT) | instid1(SALU_CYCLE_1)
	s_add_nc_u64 s[12:13], s[22:23], s[12:13]
	v_add_nc_u64_e32 v[4:5], s[12:13], v[2:3]
	v_bfrev_b32_e32 v3, -2
	s_mov_b32 s12, 0
	s_delay_alu instid0(VALU_DEP_2)
	v_add_nc_u64_e32 v[6:7], 24, v[4:5]
	v_mov_b64_e32 v[4:5], 0
.LBB19_48:                              ; =>This Inner Loop Header: Depth=1
	global_load_b64 v[10:11], v[6:7], off
	v_cmp_eq_u32_e32 vcc_lo, 0x7fffffff, v3
	s_wait_xcnt 0x0
	v_add_nc_u64_e32 v[6:7], 0x800, v[6:7]
	s_wait_loadcnt 0x0
	v_cmp_lt_f64_e64 s13, v[4:5], |v[10:11]|
	v_and_b32_e32 v11, 0x7fffffff, v11
	s_or_b32 vcc_lo, s13, vcc_lo
	s_delay_alu instid0(VALU_DEP_1) | instid1(SALU_CYCLE_1)
	v_dual_add_nc_u32 v9, 1, v8 :: v_dual_cndmask_b32 v5, v5, v11, vcc_lo
	v_add_nc_u32_e32 v8, 0x100, v8
	s_delay_alu instid0(VALU_DEP_2) | instskip(NEXT) | instid1(VALU_DEP_2)
	v_dual_cndmask_b32 v4, v4, v10 :: v_dual_cndmask_b32 v3, v3, v9
	v_cmp_le_i32_e64 s4, s48, v8
	s_or_b32 s12, s4, s12
	s_delay_alu instid0(SALU_CYCLE_1)
	s_and_not1_b32 exec_lo, exec_lo, s12
	s_cbranch_execnz .LBB19_48
; %bb.49:
	s_or_b32 exec_lo, exec_lo, s12
.LBB19_50:
	s_delay_alu instid0(SALU_CYCLE_1)
	s_or_b32 exec_lo, exec_lo, s5
	s_cmp_lt_i32 s7, 3
	ds_store_b64 v2, v[4:5]
	ds_store_b32 v1, v3
	s_wait_dscnt 0x0
	s_barrier_signal -1
	s_barrier_wait -1
	s_cbranch_scc1 .LBB19_87
; %bb.51:
	s_mov_b32 s5, exec_lo
	v_cmpx_gt_u32_e32 0x80, v0
	s_cbranch_execz .LBB19_57
; %bb.52:
	ds_load_b64 v[6:7], v2 offset:1024
	ds_load_b32 v8, v1 offset:512
	s_mov_b32 s13, exec_lo
	s_wait_dscnt 0x1
	v_cmp_lt_f64_e64 s12, v[4:5], v[6:7]
	v_cmpx_nlt_f64_e32 v[4:5], v[6:7]
	s_cbranch_execz .LBB19_54
; %bb.53:
	v_cmp_eq_f64_e32 vcc_lo, v[4:5], v[6:7]
	s_wait_dscnt 0x0
	v_cmp_gt_i32_e64 s4, v3, v8
	s_and_not1_b32 s12, s12, exec_lo
	s_and_b32 s4, vcc_lo, s4
	s_delay_alu instid0(SALU_CYCLE_1) | instskip(NEXT) | instid1(SALU_CYCLE_1)
	s_and_b32 s4, s4, exec_lo
	s_or_b32 s12, s12, s4
.LBB19_54:
	s_or_b32 exec_lo, exec_lo, s13
	s_and_saveexec_b32 s4, s12
	s_cbranch_execz .LBB19_56
; %bb.55:
	v_mov_b64_e32 v[4:5], v[6:7]
	s_wait_dscnt 0x0
	v_mov_b32_e32 v3, v8
	ds_store_b64 v2, v[6:7]
	ds_store_b32 v1, v8
.LBB19_56:
	s_or_b32 exec_lo, exec_lo, s4
.LBB19_57:
	s_delay_alu instid0(SALU_CYCLE_1) | instskip(NEXT) | instid1(SALU_CYCLE_1)
	s_or_b32 exec_lo, exec_lo, s5
	s_mov_b32 s5, exec_lo
	s_wait_dscnt 0x0
	s_barrier_signal -1
	s_barrier_wait -1
	v_cmpx_gt_u32_e32 64, v0
	s_cbranch_execz .LBB19_63
; %bb.58:
	ds_load_b64 v[6:7], v2 offset:512
	ds_load_b32 v8, v1 offset:256
	s_mov_b32 s13, exec_lo
	s_wait_dscnt 0x1
	v_cmp_lt_f64_e64 s12, v[4:5], v[6:7]
	v_cmpx_nlt_f64_e32 v[4:5], v[6:7]
	s_cbranch_execz .LBB19_60
; %bb.59:
	v_cmp_eq_f64_e32 vcc_lo, v[4:5], v[6:7]
	s_wait_dscnt 0x0
	v_cmp_gt_i32_e64 s4, v3, v8
	s_and_not1_b32 s12, s12, exec_lo
	s_and_b32 s4, vcc_lo, s4
	s_delay_alu instid0(SALU_CYCLE_1) | instskip(NEXT) | instid1(SALU_CYCLE_1)
	s_and_b32 s4, s4, exec_lo
	s_or_b32 s12, s12, s4
.LBB19_60:
	s_or_b32 exec_lo, exec_lo, s13
	s_and_saveexec_b32 s4, s12
	s_cbranch_execz .LBB19_62
; %bb.61:
	v_mov_b64_e32 v[4:5], v[6:7]
	s_wait_dscnt 0x0
	v_mov_b32_e32 v3, v8
	ds_store_b64 v2, v[6:7]
	ds_store_b32 v1, v8
.LBB19_62:
	s_or_b32 exec_lo, exec_lo, s4
.LBB19_63:
	s_delay_alu instid0(SALU_CYCLE_1) | instskip(NEXT) | instid1(SALU_CYCLE_1)
	s_or_b32 exec_lo, exec_lo, s5
	s_mov_b32 s12, exec_lo
	s_wait_dscnt 0x0
	s_barrier_signal -1
	s_barrier_wait -1
	v_cmpx_gt_u32_e32 32, v0
	s_cbranch_execz .LBB19_86
; %bb.64:
	ds_load_b64 v[6:7], v2 offset:256
	ds_load_b32 v8, v1 offset:128
	s_mov_b32 s13, exec_lo
	s_wait_dscnt 0x1
	v_cmp_lt_f64_e64 s5, v[4:5], v[6:7]
	v_cmpx_nlt_f64_e32 v[4:5], v[6:7]
	s_cbranch_execz .LBB19_66
; %bb.65:
	v_cmp_eq_f64_e32 vcc_lo, v[4:5], v[6:7]
	s_wait_dscnt 0x0
	v_cmp_gt_i32_e64 s4, v3, v8
	s_and_not1_b32 s5, s5, exec_lo
	s_and_b32 s4, vcc_lo, s4
	s_delay_alu instid0(SALU_CYCLE_1) | instskip(NEXT) | instid1(SALU_CYCLE_1)
	s_and_b32 s4, s4, exec_lo
	s_or_b32 s5, s5, s4
.LBB19_66:
	s_or_b32 exec_lo, exec_lo, s13
	s_and_saveexec_b32 s4, s5
	s_cbranch_execz .LBB19_68
; %bb.67:
	v_mov_b64_e32 v[4:5], v[6:7]
	s_wait_dscnt 0x0
	v_mov_b32_e32 v3, v8
	ds_store_b64 v2, v[6:7]
	ds_store_b32 v1, v8
.LBB19_68:
	s_or_b32 exec_lo, exec_lo, s4
	ds_load_b64 v[6:7], v2 offset:128
	s_wait_dscnt 0x1
	ds_load_b32 v8, v1 offset:64
	s_mov_b32 s13, exec_lo
	s_wait_dscnt 0x1
	v_cmp_lt_f64_e64 s5, v[4:5], v[6:7]
	v_cmpx_nlt_f64_e32 v[4:5], v[6:7]
	s_cbranch_execz .LBB19_70
; %bb.69:
	v_cmp_eq_f64_e32 vcc_lo, v[4:5], v[6:7]
	s_wait_dscnt 0x0
	v_cmp_gt_i32_e64 s4, v3, v8
	s_and_not1_b32 s5, s5, exec_lo
	s_and_b32 s4, vcc_lo, s4
	s_delay_alu instid0(SALU_CYCLE_1) | instskip(NEXT) | instid1(SALU_CYCLE_1)
	s_and_b32 s4, s4, exec_lo
	s_or_b32 s5, s5, s4
.LBB19_70:
	s_or_b32 exec_lo, exec_lo, s13
	s_and_saveexec_b32 s4, s5
	s_cbranch_execz .LBB19_72
; %bb.71:
	v_mov_b64_e32 v[4:5], v[6:7]
	s_wait_dscnt 0x0
	v_mov_b32_e32 v3, v8
	ds_store_b64 v2, v[6:7]
	ds_store_b32 v1, v8
.LBB19_72:
	s_or_b32 exec_lo, exec_lo, s4
	ds_load_b64 v[6:7], v2 offset:64
	s_wait_dscnt 0x1
	;; [unrolled: 29-line block ×5, first 2 shown]
	ds_load_b32 v8, v1 offset:4
	s_wait_dscnt 0x1
	v_cmp_eq_f64_e32 vcc_lo, v[4:5], v[6:7]
	v_cmp_lt_f64_e64 s4, v[4:5], v[6:7]
	s_wait_dscnt 0x0
	v_cmp_gt_i32_e64 s5, v3, v8
	s_and_b32 s5, vcc_lo, s5
	s_delay_alu instid0(SALU_CYCLE_1) | instskip(NEXT) | instid1(SALU_CYCLE_1)
	s_or_b32 s4, s4, s5
	s_and_b32 exec_lo, exec_lo, s4
	s_cbranch_execz .LBB19_86
; %bb.85:
	ds_store_b64 v2, v[6:7]
	ds_store_b32 v1, v8
.LBB19_86:
	s_or_b32 exec_lo, exec_lo, s12
.LBB19_87:
	v_mov_b32_e32 v1, 0
	s_wait_dscnt 0x0
	s_barrier_signal -1
	s_barrier_wait -1
	ds_load_b64 v[2:3], v1
	s_load_b128 s[52:55], s[0:1], 0x8
	s_or_b32 s4, s33, 2
	s_delay_alu instid0(SALU_CYCLE_1) | instskip(NEXT) | instid1(SALU_CYCLE_1)
	s_mul_i32 s4, s4, s28
	s_ashr_i32 s5, s4, 31
	s_delay_alu instid0(SALU_CYCLE_1) | instskip(NEXT) | instid1(SALU_CYCLE_1)
	s_lshl_b64 s[4:5], s[4:5], 3
	s_add_nc_u64 s[12:13], s[22:23], s[4:5]
	s_wait_dscnt 0x0
	s_wait_kmcnt 0x0
	v_mul_f64_e32 v[2:3], s[26:27], v[2:3]
	v_mov_b64_e32 v[4:5], s[54:55]
	s_delay_alu instid0(VALU_DEP_2)
	v_cmp_gt_f64_e32 vcc_lo, s[26:27], v[2:3]
	v_readfirstlane_b32 s4, v3
	v_readfirstlane_b32 s5, v2
	v_mov_b64_e32 v[2:3], s[52:53]
	s_and_b32 s14, vcc_lo, exec_lo
	s_cselect_b32 s15, s27, s4
	s_cselect_b32 s14, s26, s5
	s_and_not1_b32 vcc_lo, exec_lo, s46
	s_mov_b32 s4, -1
	s_cbranch_vccnz .LBB19_135
; %bb.88:
	s_lshl_b64 s[44:45], s[10:11], 3
	s_lshl_b64 s[4:5], s[42:43], 3
	s_add_nc_u64 s[26:27], s[12:13], s[44:45]
	s_lshl_b64 s[40:41], s[40:41], 3
	s_add_nc_u64 s[26:27], s[26:27], s[44:45]
	s_add_nc_u64 s[16:17], s[16:17], s[4:5]
	;; [unrolled: 1-line block ×3, first 2 shown]
	s_and_saveexec_b32 s29, s2
	s_cbranch_execz .LBB19_96
; %bb.89:
	v_mov_b32_e32 v7, 0
	s_cmp_gt_i32 s7, 1
	s_clause 0x1
	global_load_b64 v[8:9], v7, s[8:9]
	global_load_b64 v[4:5], v7, s[16:17]
	s_cselect_b32 s42, -1, 0
	s_cmp_lt_i32 s7, 2
	s_wait_loadcnt 0x0
	v_add_f64_e64 v[2:3], v[8:9], -|v[4:5]|
	v_and_b32_e32 v1, 0x7fffffff, v5
	s_delay_alu instid0(VALU_DEP_2) | instskip(NEXT) | instid1(VALU_DEP_1)
	v_add_f64_e64 v[10:11], v[8:9], -v[2:3]
	v_cmp_ge_f64_e32 vcc_lo, s[14:15], v[10:11]
	v_cndmask_b32_e64 v6, 0, 1, vcc_lo
	s_cbranch_scc1 .LBB19_92
; %bb.90:
	v_cmp_gt_f64_e64 s40, v[10:11], -s[14:15]
	s_add_co_i32 s4, s33, 2
	s_xor_b32 s43, s15, 0x80000000
	s_mul_i32 s4, s28, s4
	s_mov_b32 s46, s48
	s_ashr_i32 s5, s4, 31
	s_delay_alu instid0(SALU_CYCLE_1) | instskip(NEXT) | instid1(SALU_CYCLE_1)
	s_lshl_b64 s[4:5], s[4:5], 3
	s_add_nc_u64 s[4:5], s[22:23], s[4:5]
	s_delay_alu instid0(SALU_CYCLE_1) | instskip(SKIP_1) | instid1(SALU_CYCLE_1)
	s_add_nc_u64 s[4:5], s[4:5], 24
	s_and_b32 s40, vcc_lo, s40
	v_cndmask_b32_e64 v11, v11, s43, s40
	v_cndmask_b32_e64 v10, v10, s14, s40
	s_add_nc_u64 s[40:41], s[8:9], 8
.LBB19_91:                              ; =>This Inner Loop Header: Depth=1
	s_clause 0x1
	global_load_b64 v[12:13], v7, s[4:5]
	global_load_b64 v[14:15], v7, s[40:41]
	s_add_co_i32 s46, s46, -1
	s_wait_xcnt 0x1
	s_add_nc_u64 s[4:5], s[4:5], 8
	s_wait_xcnt 0x0
	s_add_nc_u64 s[40:41], s[40:41], 8
	s_wait_loadcnt 0x1
	v_div_scale_f64 v[16:17], null, v[10:11], v[10:11], v[12:13]
	v_div_scale_f64 v[22:23], vcc_lo, v[12:13], v[10:11], v[12:13]
	s_wait_loadcnt 0x0
	v_add_f64_e64 v[14:15], v[14:15], -v[2:3]
	s_delay_alu instid0(VALU_DEP_3) | instskip(SKIP_1) | instid1(TRANS32_DEP_1)
	v_rcp_f64_e32 v[18:19], v[16:17]
	v_nop
	v_fma_f64 v[20:21], -v[16:17], v[18:19], 1.0
	s_delay_alu instid0(VALU_DEP_1) | instskip(NEXT) | instid1(VALU_DEP_1)
	v_fmac_f64_e32 v[18:19], v[18:19], v[20:21]
	v_fma_f64 v[20:21], -v[16:17], v[18:19], 1.0
	s_delay_alu instid0(VALU_DEP_1) | instskip(NEXT) | instid1(VALU_DEP_1)
	v_fmac_f64_e32 v[18:19], v[18:19], v[20:21]
	v_mul_f64_e32 v[20:21], v[22:23], v[18:19]
	s_delay_alu instid0(VALU_DEP_1) | instskip(NEXT) | instid1(VALU_DEP_1)
	v_fma_f64 v[16:17], -v[16:17], v[20:21], v[22:23]
	v_div_fmas_f64 v[16:17], v[16:17], v[18:19], v[20:21]
	s_delay_alu instid0(VALU_DEP_1) | instskip(NEXT) | instid1(VALU_DEP_1)
	v_div_fixup_f64 v[10:11], v[16:17], v[10:11], v[12:13]
	v_add_f64_e64 v[10:11], v[14:15], -v[10:11]
	s_delay_alu instid0(VALU_DEP_1)
	v_cmp_ge_f64_e32 vcc_lo, s[14:15], v[10:11]
	v_cmp_gt_f64_e64 s47, v[10:11], -s[14:15]
	v_add_co_ci_u32_e64 v6, null, 0, v6, vcc_lo
	s_and_b32 s47, vcc_lo, s47
	s_cmp_lg_u32 s46, 0
	v_cndmask_b32_e64 v11, v11, s43, s47
	v_cndmask_b32_e64 v10, v10, s14, s47
	s_cbranch_scc1 .LBB19_91
.LBB19_92:
	v_mov_b32_e32 v5, v1
	s_and_not1_b32 vcc_lo, exec_lo, s42
	s_delay_alu instid0(VALU_DEP_1) | instskip(NEXT) | instid1(VALU_DEP_1)
	v_add_f64_e32 v[4:5], v[8:9], v[4:5]
	v_add_f64_e64 v[8:9], v[8:9], -v[4:5]
	s_delay_alu instid0(VALU_DEP_1) | instskip(NEXT) | instid1(VALU_DEP_1)
	v_cmp_ge_f64_e64 s4, s[14:15], v[8:9]
	v_cndmask_b32_e64 v7, 0, 1, s4
	s_cbranch_vccnz .LBB19_95
; %bb.93:
	v_cmp_gt_f64_e64 s5, v[8:9], -s[14:15]
	s_add_co_i32 s40, s33, 2
	s_xor_b32 s42, s15, 0x80000000
	s_mul_i32 s40, s28, s40
	v_mov_b32_e32 v1, 0
	s_ashr_i32 s41, s40, 31
	s_mov_b32 s43, s48
	s_lshl_b64 s[40:41], s[40:41], 3
	s_delay_alu instid0(SALU_CYCLE_1) | instskip(SKIP_1) | instid1(SALU_CYCLE_1)
	s_add_nc_u64 s[40:41], s[22:23], s[40:41]
	s_and_b32 s4, s4, s5
	v_cndmask_b32_e64 v9, v9, s42, s4
	v_cndmask_b32_e64 v8, v8, s14, s4
	s_add_nc_u64 s[4:5], s[40:41], 24
	s_add_nc_u64 s[40:41], s[8:9], 8
.LBB19_94:                              ; =>This Inner Loop Header: Depth=1
	s_clause 0x1
	global_load_b64 v[10:11], v1, s[4:5]
	global_load_b64 v[12:13], v1, s[40:41]
	s_add_co_i32 s43, s43, -1
	s_wait_xcnt 0x1
	s_add_nc_u64 s[4:5], s[4:5], 8
	s_wait_xcnt 0x0
	s_add_nc_u64 s[40:41], s[40:41], 8
	s_wait_loadcnt 0x1
	v_div_scale_f64 v[14:15], null, v[8:9], v[8:9], v[10:11]
	v_div_scale_f64 v[20:21], vcc_lo, v[10:11], v[8:9], v[10:11]
	s_wait_loadcnt 0x0
	v_add_f64_e64 v[12:13], v[12:13], -v[4:5]
	s_delay_alu instid0(VALU_DEP_3) | instskip(SKIP_1) | instid1(TRANS32_DEP_1)
	v_rcp_f64_e32 v[16:17], v[14:15]
	v_nop
	v_fma_f64 v[18:19], -v[14:15], v[16:17], 1.0
	s_delay_alu instid0(VALU_DEP_1) | instskip(NEXT) | instid1(VALU_DEP_1)
	v_fmac_f64_e32 v[16:17], v[16:17], v[18:19]
	v_fma_f64 v[18:19], -v[14:15], v[16:17], 1.0
	s_delay_alu instid0(VALU_DEP_1) | instskip(NEXT) | instid1(VALU_DEP_1)
	v_fmac_f64_e32 v[16:17], v[16:17], v[18:19]
	v_mul_f64_e32 v[18:19], v[20:21], v[16:17]
	s_delay_alu instid0(VALU_DEP_1) | instskip(NEXT) | instid1(VALU_DEP_1)
	v_fma_f64 v[14:15], -v[14:15], v[18:19], v[20:21]
	v_div_fmas_f64 v[14:15], v[14:15], v[16:17], v[18:19]
	s_delay_alu instid0(VALU_DEP_1) | instskip(NEXT) | instid1(VALU_DEP_1)
	v_div_fixup_f64 v[8:9], v[14:15], v[8:9], v[10:11]
	v_add_f64_e64 v[8:9], v[12:13], -v[8:9]
	s_delay_alu instid0(VALU_DEP_1)
	v_cmp_ge_f64_e32 vcc_lo, s[14:15], v[8:9]
	v_cmp_gt_f64_e64 s46, v[8:9], -s[14:15]
	v_add_co_ci_u32_e64 v7, null, 0, v7, vcc_lo
	s_and_b32 s46, vcc_lo, s46
	s_cmp_lg_u32 s43, 0
	v_cndmask_b32_e64 v9, v9, s42, s46
	v_cndmask_b32_e64 v8, v8, s14, s46
	s_cbranch_scc1 .LBB19_94
.LBB19_95:
	v_mov_b32_e32 v1, 0
	s_clause 0x1
	global_store_b128 v1, v[2:5], s[26:27] offset:16
	global_store_b64 v1, v[6:7], s[38:39] offset:8
.LBB19_96:
	s_wait_xcnt 0x0
	s_or_b32 exec_lo, exec_lo, s29
	v_add_nc_u32_e32 v4, 1, v0
	s_mov_b32 s29, exec_lo
	s_delay_alu instid0(VALU_DEP_1)
	v_cmpx_gt_i32_e64 s48, v4
	s_cbranch_execz .LBB19_103
; %bb.97:
	s_add_co_i32 s4, s33, 2
	v_mov_b32_e32 v5, 0
	s_mul_i32 s40, s28, s4
	s_add_nc_u64 s[4:5], s[8:9], 8
	s_ashr_i32 s41, s40, 31
	s_mov_b32 s49, 0
	s_lshl_b64 s[40:41], s[40:41], 3
	s_xor_b32 s50, s15, 0x80000000
	s_add_nc_u64 s[40:41], s[22:23], s[40:41]
	s_delay_alu instid0(SALU_CYCLE_1)
	s_add_nc_u64 s[40:41], s[40:41], 24
.LBB19_98:                              ; =>This Loop Header: Depth=1
                                        ;     Child Loop BB19_99 Depth 2
                                        ;     Child Loop BB19_101 Depth 2
	v_lshl_add_u64 v[0:1], v[4:5], 3, s[16:17]
	s_mov_b32 s51, 1
	s_mov_b64 s[46:47], s[40:41]
	global_load_b128 v[10:13], v[0:1], off offset:-8
	s_clause 0x1
	global_load_b64 v[2:3], v4, s[8:9] scale_offset
	global_load_b64 v[8:9], v5, s[8:9]
	s_wait_loadcnt 0x2
	v_add_f64_e64 v[10:11], |v[12:13]|, |v[10:11]|
	s_wait_loadcnt 0x1
	s_wait_xcnt 0x2
	s_delay_alu instid0(VALU_DEP_1) | instskip(SKIP_1) | instid1(VALU_DEP_1)
	v_add_f64_e64 v[0:1], v[2:3], -v[10:11]
	s_wait_loadcnt 0x0
	v_add_f64_e64 v[12:13], v[8:9], -v[0:1]
	s_delay_alu instid0(VALU_DEP_1)
	v_cmp_gt_f64_e64 s42, v[12:13], -s[14:15]
	v_cmp_ge_f64_e32 vcc_lo, s[14:15], v[12:13]
	s_and_b32 s42, vcc_lo, s42
	v_cndmask_b32_e64 v6, 0, 1, vcc_lo
	v_cndmask_b32_e64 v13, v13, s50, s42
	v_cndmask_b32_e64 v12, v12, s14, s42
	s_mov_b64 s[42:43], s[4:5]
.LBB19_99:                              ;   Parent Loop BB19_98 Depth=1
                                        ; =>  This Inner Loop Header: Depth=2
	s_clause 0x1
	global_load_b64 v[14:15], v5, s[46:47]
	global_load_b64 v[16:17], v5, s[42:43]
	s_add_co_i32 s51, s51, 1
	s_wait_xcnt 0x1
	s_add_nc_u64 s[46:47], s[46:47], 8
	s_wait_xcnt 0x0
	s_add_nc_u64 s[42:43], s[42:43], 8
	s_wait_loadcnt 0x1
	v_div_scale_f64 v[18:19], null, v[12:13], v[12:13], v[14:15]
	v_div_scale_f64 v[24:25], vcc_lo, v[14:15], v[12:13], v[14:15]
	s_wait_loadcnt 0x0
	v_add_f64_e64 v[16:17], v[16:17], -v[0:1]
	s_delay_alu instid0(VALU_DEP_3) | instskip(SKIP_1) | instid1(TRANS32_DEP_1)
	v_rcp_f64_e32 v[20:21], v[18:19]
	v_nop
	v_fma_f64 v[22:23], -v[18:19], v[20:21], 1.0
	s_delay_alu instid0(VALU_DEP_1) | instskip(NEXT) | instid1(VALU_DEP_1)
	v_fmac_f64_e32 v[20:21], v[20:21], v[22:23]
	v_fma_f64 v[22:23], -v[18:19], v[20:21], 1.0
	s_delay_alu instid0(VALU_DEP_1) | instskip(NEXT) | instid1(VALU_DEP_1)
	v_fmac_f64_e32 v[20:21], v[20:21], v[22:23]
	v_mul_f64_e32 v[22:23], v[24:25], v[20:21]
	s_delay_alu instid0(VALU_DEP_1) | instskip(NEXT) | instid1(VALU_DEP_1)
	v_fma_f64 v[18:19], -v[18:19], v[22:23], v[24:25]
	v_div_fmas_f64 v[18:19], v[18:19], v[20:21], v[22:23]
	s_delay_alu instid0(VALU_DEP_1) | instskip(NEXT) | instid1(VALU_DEP_1)
	v_div_fixup_f64 v[12:13], v[18:19], v[12:13], v[14:15]
	v_add_f64_e64 v[12:13], v[16:17], -v[12:13]
	s_delay_alu instid0(VALU_DEP_1)
	v_cmp_ge_f64_e32 vcc_lo, s[14:15], v[12:13]
	v_cmp_gt_f64_e64 s52, v[12:13], -s[14:15]
	v_add_co_ci_u32_e64 v6, null, 0, v6, vcc_lo
	s_and_b32 s52, vcc_lo, s52
	s_cmp_lg_u32 s7, s51
	v_cndmask_b32_e64 v13, v13, s50, s52
	v_cndmask_b32_e64 v12, v12, s14, s52
	s_cbranch_scc1 .LBB19_99
; %bb.100:                              ;   in Loop: Header=BB19_98 Depth=1
	v_add_f64_e32 v[2:3], v[2:3], v[10:11]
	s_mov_b64 s[46:47], s[40:41]
	s_mov_b32 s51, s48
	s_delay_alu instid0(VALU_DEP_1) | instskip(NEXT) | instid1(VALU_DEP_1)
	v_add_f64_e64 v[8:9], v[8:9], -v[2:3]
	v_cmp_gt_f64_e64 s42, v[8:9], -s[14:15]
	v_cmp_ge_f64_e32 vcc_lo, s[14:15], v[8:9]
	s_and_b32 s42, vcc_lo, s42
	v_cndmask_b32_e64 v7, 0, 1, vcc_lo
	v_cndmask_b32_e64 v9, v9, s50, s42
	v_cndmask_b32_e64 v8, v8, s14, s42
	s_mov_b64 s[42:43], s[4:5]
.LBB19_101:                             ;   Parent Loop BB19_98 Depth=1
                                        ; =>  This Inner Loop Header: Depth=2
	s_clause 0x1
	global_load_b64 v[10:11], v5, s[46:47]
	global_load_b64 v[12:13], v5, s[42:43]
	s_add_co_i32 s51, s51, -1
	s_wait_xcnt 0x1
	s_add_nc_u64 s[46:47], s[46:47], 8
	s_wait_xcnt 0x0
	s_add_nc_u64 s[42:43], s[42:43], 8
	s_wait_loadcnt 0x1
	v_div_scale_f64 v[14:15], null, v[8:9], v[8:9], v[10:11]
	v_div_scale_f64 v[20:21], vcc_lo, v[10:11], v[8:9], v[10:11]
	s_wait_loadcnt 0x0
	v_add_f64_e64 v[12:13], v[12:13], -v[2:3]
	s_delay_alu instid0(VALU_DEP_3) | instskip(SKIP_1) | instid1(TRANS32_DEP_1)
	v_rcp_f64_e32 v[16:17], v[14:15]
	v_nop
	v_fma_f64 v[18:19], -v[14:15], v[16:17], 1.0
	s_delay_alu instid0(VALU_DEP_1) | instskip(NEXT) | instid1(VALU_DEP_1)
	v_fmac_f64_e32 v[16:17], v[16:17], v[18:19]
	v_fma_f64 v[18:19], -v[14:15], v[16:17], 1.0
	s_delay_alu instid0(VALU_DEP_1) | instskip(NEXT) | instid1(VALU_DEP_1)
	v_fmac_f64_e32 v[16:17], v[16:17], v[18:19]
	v_mul_f64_e32 v[18:19], v[20:21], v[16:17]
	s_delay_alu instid0(VALU_DEP_1) | instskip(NEXT) | instid1(VALU_DEP_1)
	v_fma_f64 v[14:15], -v[14:15], v[18:19], v[20:21]
	v_div_fmas_f64 v[14:15], v[14:15], v[16:17], v[18:19]
	s_delay_alu instid0(VALU_DEP_1) | instskip(NEXT) | instid1(VALU_DEP_1)
	v_div_fixup_f64 v[8:9], v[14:15], v[8:9], v[10:11]
	v_add_f64_e64 v[8:9], v[12:13], -v[8:9]
	s_delay_alu instid0(VALU_DEP_1)
	v_cmp_ge_f64_e32 vcc_lo, s[14:15], v[8:9]
	v_cmp_gt_f64_e64 s52, v[8:9], -s[14:15]
	v_add_co_ci_u32_e64 v7, null, 0, v7, vcc_lo
	s_and_b32 s52, vcc_lo, s52
	s_cmp_lg_u32 s51, 0
	v_cndmask_b32_e64 v9, v9, s50, s52
	v_cndmask_b32_e64 v8, v8, s14, s52
	s_cbranch_scc1 .LBB19_101
; %bb.102:                              ;   in Loop: Header=BB19_98 Depth=1
	v_dual_mov_b32 v9, v5 :: v_dual_lshlrev_b32 v8, 1, v4
	v_add_nc_u32_e32 v4, 0x100, v4
	s_delay_alu instid0(VALU_DEP_2) | instskip(NEXT) | instid1(VALU_DEP_2)
	v_lshl_add_u64 v[10:11], v[8:9], 3, s[26:27]
	v_cmp_le_i32_e32 vcc_lo, s48, v4
	v_lshl_add_u64 v[8:9], v[8:9], 2, s[38:39]
	global_store_b128 v[10:11], v[0:3], off offset:16
	global_store_b64 v[8:9], v[6:7], off offset:8
	s_or_b32 s49, vcc_lo, s49
	s_wait_xcnt 0x0
	s_and_not1_b32 exec_lo, exec_lo, s49
	s_cbranch_execnz .LBB19_98
.LBB19_103:
	s_or_b32 exec_lo, exec_lo, s29
	s_and_saveexec_b32 s29, s3
	s_cbranch_execz .LBB19_111
; %bb.104:
	v_mov_b32_e32 v5, 0
	s_add_nc_u64 s[4:5], s[8:9], s[44:45]
	s_add_nc_u64 s[16:17], s[16:17], s[44:45]
	s_cmp_gt_i32 s7, 1
	s_clause 0x2
	global_load_b64 v[2:3], v5, s[4:5] offset:-8
	global_load_b64 v[6:7], v5, s[16:17] offset:-16
	global_load_b64 v[8:9], v5, s[8:9]
	s_cselect_b32 s40, -1, 0
	s_cmp_lt_i32 s7, 2
	s_wait_loadcnt 0x1
	v_add_f64_e64 v[0:1], v[2:3], -|v[6:7]|
	v_and_b32_e32 v7, 0x7fffffff, v7
	s_wait_loadcnt 0x0
	s_delay_alu instid0(VALU_DEP_2) | instskip(NEXT) | instid1(VALU_DEP_1)
	v_add_f64_e64 v[10:11], v[8:9], -v[0:1]
	v_cmp_ge_f64_e32 vcc_lo, s[14:15], v[10:11]
	v_cndmask_b32_e64 v4, 0, 1, vcc_lo
	s_cbranch_scc1 .LBB19_107
; %bb.105:
	s_wait_xcnt 0x1
	v_cmp_gt_f64_e64 s16, v[10:11], -s[14:15]
	s_add_co_i32 s3, s33, 2
	s_mov_b32 s41, s48
	s_mul_i32 s4, s28, s3
	s_xor_b32 s3, s15, 0x80000000
	s_ashr_i32 s5, s4, 31
	s_delay_alu instid0(SALU_CYCLE_1) | instskip(NEXT) | instid1(SALU_CYCLE_1)
	s_lshl_b64 s[4:5], s[4:5], 3
	s_add_nc_u64 s[4:5], s[22:23], s[4:5]
	s_delay_alu instid0(SALU_CYCLE_1) | instskip(SKIP_1) | instid1(SALU_CYCLE_1)
	s_add_nc_u64 s[4:5], s[4:5], 24
	s_and_b32 s16, vcc_lo, s16
	v_cndmask_b32_e64 v11, v11, s3, s16
	v_cndmask_b32_e64 v10, v10, s14, s16
	s_add_nc_u64 s[16:17], s[8:9], 8
.LBB19_106:                             ; =>This Inner Loop Header: Depth=1
	s_clause 0x1
	global_load_b64 v[12:13], v5, s[4:5]
	global_load_b64 v[14:15], v5, s[16:17]
	s_add_co_i32 s41, s41, -1
	s_wait_xcnt 0x1
	s_add_nc_u64 s[4:5], s[4:5], 8
	s_wait_xcnt 0x0
	s_add_nc_u64 s[16:17], s[16:17], 8
	s_wait_loadcnt 0x1
	v_div_scale_f64 v[16:17], null, v[10:11], v[10:11], v[12:13]
	v_div_scale_f64 v[22:23], vcc_lo, v[12:13], v[10:11], v[12:13]
	s_wait_loadcnt 0x0
	v_add_f64_e64 v[14:15], v[14:15], -v[0:1]
	s_delay_alu instid0(VALU_DEP_3) | instskip(SKIP_1) | instid1(TRANS32_DEP_1)
	v_rcp_f64_e32 v[18:19], v[16:17]
	v_nop
	v_fma_f64 v[20:21], -v[16:17], v[18:19], 1.0
	s_delay_alu instid0(VALU_DEP_1) | instskip(NEXT) | instid1(VALU_DEP_1)
	v_fmac_f64_e32 v[18:19], v[18:19], v[20:21]
	v_fma_f64 v[20:21], -v[16:17], v[18:19], 1.0
	s_delay_alu instid0(VALU_DEP_1) | instskip(NEXT) | instid1(VALU_DEP_1)
	v_fmac_f64_e32 v[18:19], v[18:19], v[20:21]
	v_mul_f64_e32 v[20:21], v[22:23], v[18:19]
	s_delay_alu instid0(VALU_DEP_1) | instskip(NEXT) | instid1(VALU_DEP_1)
	v_fma_f64 v[16:17], -v[16:17], v[20:21], v[22:23]
	v_div_fmas_f64 v[16:17], v[16:17], v[18:19], v[20:21]
	s_delay_alu instid0(VALU_DEP_1) | instskip(NEXT) | instid1(VALU_DEP_1)
	v_div_fixup_f64 v[10:11], v[16:17], v[10:11], v[12:13]
	v_add_f64_e64 v[10:11], v[14:15], -v[10:11]
	s_delay_alu instid0(VALU_DEP_1)
	v_cmp_ge_f64_e32 vcc_lo, s[14:15], v[10:11]
	v_cmp_gt_f64_e64 s42, v[10:11], -s[14:15]
	v_add_co_ci_u32_e64 v4, null, 0, v4, vcc_lo
	s_and_b32 s42, vcc_lo, s42
	s_cmp_lg_u32 s41, 0
	v_cndmask_b32_e64 v11, v11, s3, s42
	v_cndmask_b32_e64 v10, v10, s14, s42
	s_cbranch_scc1 .LBB19_106
.LBB19_107:
	v_add_f64_e32 v[2:3], v[2:3], v[6:7]
	s_and_not1_b32 vcc_lo, exec_lo, s40
	s_delay_alu instid0(VALU_DEP_1) | instskip(NEXT) | instid1(VALU_DEP_1)
	v_add_f64_e64 v[6:7], v[8:9], -v[2:3]
	v_cmp_ge_f64_e64 s3, s[14:15], v[6:7]
	s_wait_xcnt 0x0
	s_delay_alu instid0(VALU_DEP_1)
	v_cndmask_b32_e64 v5, 0, 1, s3
	s_cbranch_vccnz .LBB19_110
; %bb.108:
	v_cmp_gt_f64_e64 s17, v[6:7], -s[14:15]
	s_add_co_i32 s4, s33, 2
	s_xor_b32 s16, s15, 0x80000000
	s_mul_i32 s4, s28, s4
	v_mov_b32_e32 v8, 0
	s_ashr_i32 s5, s4, 31
	s_add_nc_u64 s[8:9], s[8:9], 8
	s_lshl_b64 s[4:5], s[4:5], 3
	s_delay_alu instid0(SALU_CYCLE_1) | instskip(NEXT) | instid1(SALU_CYCLE_1)
	s_add_nc_u64 s[4:5], s[22:23], s[4:5]
	s_add_nc_u64 s[4:5], s[4:5], 24
	s_and_b32 s3, s3, s17
	s_delay_alu instid0(SALU_CYCLE_1)
	v_cndmask_b32_e64 v7, v7, s16, s3
	v_cndmask_b32_e64 v6, v6, s14, s3
.LBB19_109:                             ; =>This Inner Loop Header: Depth=1
	s_clause 0x1
	global_load_b64 v[10:11], v8, s[4:5]
	global_load_b64 v[12:13], v8, s[8:9]
	s_add_co_i32 s48, s48, -1
	s_wait_xcnt 0x1
	s_add_nc_u64 s[4:5], s[4:5], 8
	s_wait_xcnt 0x0
	s_add_nc_u64 s[8:9], s[8:9], 8
	s_wait_loadcnt 0x1
	v_div_scale_f64 v[14:15], null, v[6:7], v[6:7], v[10:11]
	v_div_scale_f64 v[20:21], vcc_lo, v[10:11], v[6:7], v[10:11]
	s_wait_loadcnt 0x0
	v_add_f64_e64 v[12:13], v[12:13], -v[2:3]
	s_delay_alu instid0(VALU_DEP_3) | instskip(SKIP_1) | instid1(TRANS32_DEP_1)
	v_rcp_f64_e32 v[16:17], v[14:15]
	v_nop
	v_fma_f64 v[18:19], -v[14:15], v[16:17], 1.0
	s_delay_alu instid0(VALU_DEP_1) | instskip(NEXT) | instid1(VALU_DEP_1)
	v_fmac_f64_e32 v[16:17], v[16:17], v[18:19]
	v_fma_f64 v[18:19], -v[14:15], v[16:17], 1.0
	s_delay_alu instid0(VALU_DEP_1) | instskip(NEXT) | instid1(VALU_DEP_1)
	v_fmac_f64_e32 v[16:17], v[16:17], v[18:19]
	v_mul_f64_e32 v[18:19], v[20:21], v[16:17]
	s_delay_alu instid0(VALU_DEP_1) | instskip(NEXT) | instid1(VALU_DEP_1)
	v_fma_f64 v[14:15], -v[14:15], v[18:19], v[20:21]
	v_div_fmas_f64 v[14:15], v[14:15], v[16:17], v[18:19]
	s_delay_alu instid0(VALU_DEP_1) | instskip(NEXT) | instid1(VALU_DEP_1)
	v_div_fixup_f64 v[6:7], v[14:15], v[6:7], v[10:11]
	v_add_f64_e64 v[6:7], v[12:13], -v[6:7]
	s_delay_alu instid0(VALU_DEP_1)
	v_cmp_ge_f64_e32 vcc_lo, s[14:15], v[6:7]
	v_cmp_gt_f64_e64 s3, v[6:7], -s[14:15]
	v_add_co_ci_u32_e64 v5, null, 0, v5, vcc_lo
	s_and_b32 s3, vcc_lo, s3
	s_cmp_lg_u32 s48, 0
	v_cndmask_b32_e64 v7, v7, s16, s3
	v_cndmask_b32_e64 v6, v6, s14, s3
	s_cbranch_scc1 .LBB19_109
.LBB19_110:
	v_mov_b32_e32 v6, 0
	s_lshl_b64 s[4:5], s[36:37], 3
	s_delay_alu instid0(SALU_CYCLE_1)
	s_add_nc_u64 s[4:5], s[26:27], s[4:5]
	s_clause 0x1
	global_store_b128 v6, v[0:3], s[4:5]
	global_store_b64 v6, v[4:5], s[18:19]
.LBB19_111:
	s_wait_xcnt 0x0
	s_or_b32 exec_lo, exec_lo, s29
	s_mov_b32 s4, 0
	s_wait_storecnt 0x0
	s_barrier_signal -1
	s_barrier_wait -1
                                        ; implicit-def: $vgpr4_vgpr5
                                        ; implicit-def: $vgpr2_vgpr3
	s_and_saveexec_b32 s3, s2
	s_cbranch_execz .LBB19_134
; %bb.112:
	s_cmp_gt_i32 s7, 0
	s_mov_b32 s4, 1
	s_cselect_b32 s18, -1, 0
	s_cmp_lt_i32 s7, 1
	s_cbranch_scc1 .LBB19_119
; %bb.113:
	s_add_co_i32 s33, s33, 2
	s_lshl_b64 s[10:11], s[10:11], 4
	s_mul_i32 s8, s28, s33
	v_mov_b32_e32 v4, 0
	s_ashr_i32 s9, s8, 31
	s_delay_alu instid0(SALU_CYCLE_1) | instskip(NEXT) | instid1(SALU_CYCLE_1)
	s_lshl_b64 s[8:9], s[8:9], 3
	s_add_nc_u64 s[8:9], s[10:11], s[8:9]
	s_delay_alu instid0(SALU_CYCLE_1) | instskip(NEXT) | instid1(SALU_CYCLE_1)
	s_add_nc_u64 s[8:9], s[22:23], s[8:9]
	s_add_nc_u64 s[8:9], s[8:9], 24
	s_branch .LBB19_115
.LBB19_114:                             ;   in Loop: Header=BB19_115 Depth=1
	s_add_co_i32 s4, s4, 1
	s_add_nc_u64 s[8:9], s[8:9], 8
	s_cmp_lg_u32 s4, s36
	s_cbranch_scc0 .LBB19_119
.LBB19_115:                             ; =>This Loop Header: Depth=1
                                        ;     Child Loop BB19_116 Depth 2
	s_wait_xcnt 0x3
	v_mov_b32_e32 v0, s4
	s_ashr_i32 s5, s4, 31
	s_add_co_i32 s19, s4, -1
	s_wait_xcnt 0x1
	s_lshl_b64 s[10:11], s[4:5], 3
	s_wait_xcnt 0x0
	s_mov_b64 s[16:17], s[8:9]
	global_load_b64 v[0:1], v0, s[26:27] offset:8 scale_offset
	s_add_nc_u64 s[10:11], s[26:27], s[10:11]
	s_mov_b32 s23, s4
	s_mov_b32 s22, s19
	s_wait_loadcnt 0x0
	v_mov_b64_e32 v[2:3], v[0:1]
.LBB19_116:                             ;   Parent Loop BB19_115 Depth=1
                                        ; =>  This Inner Loop Header: Depth=2
	global_load_b64 v[6:7], v4, s[16:17]
	s_wait_xcnt 0x0
	s_add_nc_u64 s[16:17], s[16:17], 8
	s_wait_loadcnt 0x0
	v_cmp_lt_f64_e32 vcc_lo, v[6:7], v[2:3]
	v_dual_cndmask_b32 v3, v3, v7 :: v_dual_cndmask_b32 v2, v2, v6
	s_and_b32 s28, vcc_lo, exec_lo
	s_cselect_b32 s22, s23, s22
	s_add_co_i32 s23, s23, 1
	s_delay_alu instid0(SALU_CYCLE_1)
	s_cmp_eq_u32 s36, s23
	s_cbranch_scc0 .LBB19_116
; %bb.117:                              ;   in Loop: Header=BB19_115 Depth=1
	s_cmp_lg_u32 s22, s19
	s_cbranch_scc0 .LBB19_114
; %bb.118:                              ;   in Loop: Header=BB19_115 Depth=1
	s_lshl_b64 s[16:17], s[4:5], 2
	v_mov_b32_e32 v5, s22
	s_add_nc_u64 s[16:17], s[38:39], s[16:17]
	s_clause 0x2
	global_load_b32 v6, v4, s[16:17] offset:4
	global_load_b32 v7, v5, s[38:39] offset:8 scale_offset
	global_store_b64 v5, v[0:1], s[26:27] offset:16 scale_offset
	s_wait_loadcnt 0x1
	global_store_b32 v5, v6, s[38:39] offset:8 scale_offset
	global_store_b64 v4, v[2:3], s[10:11] offset:8
	s_wait_loadcnt 0x0
	global_store_b32 v4, v7, s[16:17] offset:4
	s_branch .LBB19_114
.LBB19_119:
	s_wait_xcnt 0x3
	v_mov_b32_e32 v0, 0
	s_lshl_b64 s[4:5], s[36:37], 3
	v_cvt_f64_i32_e32 v[8:9], s7
	s_add_nc_u64 s[4:5], s[26:27], s[4:5]
	s_load_b64 s[0:1], s[0:1], 0x18
	s_clause 0x1
	global_load_b64 v[2:3], v0, s[26:27] offset:16
	global_load_b64 v[4:5], v0, s[4:5] offset:8
	v_cndmask_b32_e64 v1, 0, 1, s18
	s_wait_loadcnt 0x0
	v_cmp_lt_f64_e64 vcc_lo, |v[2:3]|, |v[4:5]|
	v_dual_cndmask_b32 v7, v3, v5 :: v_dual_cndmask_b32 v6, v2, v4
	s_and_not1_b32 vcc_lo, exec_lo, s18
	s_delay_alu instid0(VALU_DEP_1) | instskip(NEXT) | instid1(VALU_DEP_1)
	v_mul_f64_e64 v[6:7], s[24:25], |v[6:7]|
	v_fma_f64 v[2:3], -v[6:7], v[8:9], v[2:3]
	v_fmac_f64_e32 v[4:5], v[6:7], v[8:9]
	s_delay_alu instid0(VALU_DEP_2) | instskip(NEXT) | instid1(VALU_DEP_2)
	v_add_f64_e64 v[2:3], v[2:3], -s[14:15]
	v_add_f64_e32 v[4:5], s[14:15], v[4:5]
	s_clause 0x1
	global_store_b64 v0, v[2:3], s[26:27] offset:16
	global_store_b64 v0, v[4:5], s[4:5] offset:8
	s_cbranch_vccnz .LBB19_125
; %bb.120:
	s_wait_xcnt 0x0
	s_add_nc_u64 s[4:5], s[34:35], s[30:31]
	s_max_i32 s7, s36, 2
	s_add_nc_u64 s[4:5], s[20:21], s[4:5]
	s_add_co_i32 s7, s7, -1
	s_add_nc_u64 s[4:5], s[4:5], 12
	s_mov_b32 s9, 0
	s_branch .LBB19_122
.LBB19_121:                             ;   in Loop: Header=BB19_122 Depth=1
	s_add_co_i32 s9, s9, 1
	s_wait_xcnt 0x0
	s_add_nc_u64 s[4:5], s[4:5], 4
	s_cmp_eq_u32 s7, s9
	s_mov_b32 s8, s7
	s_cselect_b32 s10, -1, 0
	s_delay_alu instid0(SALU_CYCLE_1)
	s_and_not1_b32 vcc_lo, exec_lo, s10
	s_cbranch_vccz .LBB19_124
.LBB19_122:                             ; =>This Inner Loop Header: Depth=1
	global_load_b32 v2, v0, s[4:5]
	s_wait_loadcnt 0x0
	s_wait_kmcnt 0x0
	v_cmp_le_i32_e32 vcc_lo, s0, v2
	s_cbranch_vccz .LBB19_121
; %bb.123:
	s_mov_b32 s8, s9
                                        ; implicit-def: $sgpr4_sgpr5
.LBB19_124:
	s_mov_b32 s9, 0
	s_branch .LBB19_126
.LBB19_125:
	s_mov_b64 s[8:9], 0
.LBB19_126:
	s_wait_xcnt 0x0
	v_mov_b32_e32 v0, 0
	s_lshl_b64 s[4:5], s[8:9], 3
	v_cmp_ne_u32_e32 vcc_lo, 1, v1
	s_add_nc_u64 s[4:5], s[26:27], s[4:5]
	s_mov_b32 s7, 1
	global_load_b64 v[2:3], v0, s[4:5] offset:16
	s_cbranch_vccnz .LBB19_132
; %bb.127:
	s_wait_xcnt 0x0
	s_add_nc_u64 s[4:5], s[34:35], s[30:31]
	s_max_i32 s8, s36, 2
	s_add_nc_u64 s[4:5], s[20:21], s[4:5]
	s_add_co_i32 s9, s8, -1
	s_add_nc_u64 s[4:5], s[4:5], 12
	s_branch .LBB19_129
.LBB19_128:
	s_mov_b32 s0, s7
                                        ; implicit-def: $sgpr4_sgpr5
	s_branch .LBB19_131
.LBB19_129:                             ; =>This Inner Loop Header: Depth=1
	global_load_b32 v1, v0, s[4:5]
	s_wait_loadcnt 0x0
	s_wait_kmcnt 0x0
	v_cmp_gt_i32_e32 vcc_lo, s1, v1
	s_cbranch_vccz .LBB19_128
; %bb.130:                              ;   in Loop: Header=BB19_129 Depth=1
	s_add_co_i32 s7, s7, 1
	s_wait_xcnt 0x0
	s_add_nc_u64 s[4:5], s[4:5], 4
	s_cmp_eq_u32 s8, s7
	s_mov_b32 s0, s9
	s_cselect_b32 s10, -1, 0
	s_delay_alu instid0(SALU_CYCLE_1)
	s_and_not1_b32 vcc_lo, exec_lo, s10
	s_cbranch_vccnz .LBB19_129
.LBB19_131:
	s_ashr_i32 s1, s0, 31
	s_branch .LBB19_133
.LBB19_132:
	s_wait_kmcnt 0x0
	s_mov_b64 s[0:1], 0
.LBB19_133:
	s_wait_xcnt 0x0
	v_mov_b32_e32 v0, 0
	s_lshl_b64 s[0:1], s[0:1], 3
	s_mov_b32 s4, exec_lo
	s_add_nc_u64 s[0:1], s[26:27], s[0:1]
	global_load_b64 v[4:5], v0, s[0:1] offset:16
.LBB19_134:
	s_wait_xcnt 0x0
	s_or_b32 exec_lo, exec_lo, s3
.LBB19_135:
	s_and_saveexec_b32 s0, s4
	s_cbranch_execz .LBB19_138
; %bb.136:
	s_and_b32 exec_lo, exec_lo, s2
	s_cbranch_execz .LBB19_138
; %bb.137:
	s_cmp_eq_u32 s6, 0xe7
	v_mov_b64_e32 v[0:1], s[14:15]
	s_cselect_b32 s0, -1, 0
	v_mov_b32_e32 v6, 0
	s_wait_loadcnt 0x0
	v_cndmask_b32_e64 v5, v5, 0, s0
	v_cndmask_b32_e64 v4, v4, 0, s0
	;; [unrolled: 1-line block ×4, first 2 shown]
	s_clause 0x1
	global_store_b64 v6, v[0:1], s[12:13] offset:16
	global_store_b128 v6, v[2:5], s[12:13]
.LBB19_138:
	s_endpgm
	.section	.rodata,"a",@progbits
	.p2align	6, 0x0
	.amdhsa_kernel _ZN9rocsolver6v33100L19stedcx_split_kernelIdEEv15rocblas_erange_iT_S3_iiPS3_lS4_lS4_lPiS4_S3_S3_
		.amdhsa_group_segment_fixed_size 3072
		.amdhsa_private_segment_fixed_size 0
		.amdhsa_kernarg_size 368
		.amdhsa_user_sgpr_count 2
		.amdhsa_user_sgpr_dispatch_ptr 0
		.amdhsa_user_sgpr_queue_ptr 0
		.amdhsa_user_sgpr_kernarg_segment_ptr 1
		.amdhsa_user_sgpr_dispatch_id 0
		.amdhsa_user_sgpr_kernarg_preload_length 0
		.amdhsa_user_sgpr_kernarg_preload_offset 0
		.amdhsa_user_sgpr_private_segment_size 0
		.amdhsa_wavefront_size32 1
		.amdhsa_uses_dynamic_stack 0
		.amdhsa_enable_private_segment 0
		.amdhsa_system_sgpr_workgroup_id_x 1
		.amdhsa_system_sgpr_workgroup_id_y 1
		.amdhsa_system_sgpr_workgroup_id_z 0
		.amdhsa_system_sgpr_workgroup_info 0
		.amdhsa_system_vgpr_workitem_id 0
		.amdhsa_next_free_vgpr 33
		.amdhsa_next_free_sgpr 56
		.amdhsa_named_barrier_count 0
		.amdhsa_reserve_vcc 1
		.amdhsa_float_round_mode_32 0
		.amdhsa_float_round_mode_16_64 0
		.amdhsa_float_denorm_mode_32 3
		.amdhsa_float_denorm_mode_16_64 3
		.amdhsa_fp16_overflow 0
		.amdhsa_memory_ordered 1
		.amdhsa_forward_progress 1
		.amdhsa_inst_pref_size 57
		.amdhsa_round_robin_scheduling 0
		.amdhsa_exception_fp_ieee_invalid_op 0
		.amdhsa_exception_fp_denorm_src 0
		.amdhsa_exception_fp_ieee_div_zero 0
		.amdhsa_exception_fp_ieee_overflow 0
		.amdhsa_exception_fp_ieee_underflow 0
		.amdhsa_exception_fp_ieee_inexact 0
		.amdhsa_exception_int_div_zero 0
	.end_amdhsa_kernel
	.section	.text._ZN9rocsolver6v33100L19stedcx_split_kernelIdEEv15rocblas_erange_iT_S3_iiPS3_lS4_lS4_lPiS4_S3_S3_,"axG",@progbits,_ZN9rocsolver6v33100L19stedcx_split_kernelIdEEv15rocblas_erange_iT_S3_iiPS3_lS4_lS4_lPiS4_S3_S3_,comdat
.Lfunc_end19:
	.size	_ZN9rocsolver6v33100L19stedcx_split_kernelIdEEv15rocblas_erange_iT_S3_iiPS3_lS4_lS4_lPiS4_S3_S3_, .Lfunc_end19-_ZN9rocsolver6v33100L19stedcx_split_kernelIdEEv15rocblas_erange_iT_S3_iiPS3_lS4_lS4_lPiS4_S3_S3_
                                        ; -- End function
	.set _ZN9rocsolver6v33100L19stedcx_split_kernelIdEEv15rocblas_erange_iT_S3_iiPS3_lS4_lS4_lPiS4_S3_S3_.num_vgpr, 33
	.set _ZN9rocsolver6v33100L19stedcx_split_kernelIdEEv15rocblas_erange_iT_S3_iiPS3_lS4_lS4_lPiS4_S3_S3_.num_agpr, 0
	.set _ZN9rocsolver6v33100L19stedcx_split_kernelIdEEv15rocblas_erange_iT_S3_iiPS3_lS4_lS4_lPiS4_S3_S3_.numbered_sgpr, 56
	.set _ZN9rocsolver6v33100L19stedcx_split_kernelIdEEv15rocblas_erange_iT_S3_iiPS3_lS4_lS4_lPiS4_S3_S3_.num_named_barrier, 0
	.set _ZN9rocsolver6v33100L19stedcx_split_kernelIdEEv15rocblas_erange_iT_S3_iiPS3_lS4_lS4_lPiS4_S3_S3_.private_seg_size, 0
	.set _ZN9rocsolver6v33100L19stedcx_split_kernelIdEEv15rocblas_erange_iT_S3_iiPS3_lS4_lS4_lPiS4_S3_S3_.uses_vcc, 1
	.set _ZN9rocsolver6v33100L19stedcx_split_kernelIdEEv15rocblas_erange_iT_S3_iiPS3_lS4_lS4_lPiS4_S3_S3_.uses_flat_scratch, 0
	.set _ZN9rocsolver6v33100L19stedcx_split_kernelIdEEv15rocblas_erange_iT_S3_iiPS3_lS4_lS4_lPiS4_S3_S3_.has_dyn_sized_stack, 0
	.set _ZN9rocsolver6v33100L19stedcx_split_kernelIdEEv15rocblas_erange_iT_S3_iiPS3_lS4_lS4_lPiS4_S3_S3_.has_recursion, 0
	.set _ZN9rocsolver6v33100L19stedcx_split_kernelIdEEv15rocblas_erange_iT_S3_iiPS3_lS4_lS4_lPiS4_S3_S3_.has_indirect_call, 0
	.section	.AMDGPU.csdata,"",@progbits
; Kernel info:
; codeLenInByte = 7280
; TotalNumSgprs: 58
; NumVgprs: 33
; ScratchSize: 0
; MemoryBound: 0
; FloatMode: 240
; IeeeMode: 1
; LDSByteSize: 3072 bytes/workgroup (compile time only)
; SGPRBlocks: 0
; VGPRBlocks: 2
; NumSGPRsForWavesPerEU: 58
; NumVGPRsForWavesPerEU: 33
; NamedBarCnt: 0
; Occupancy: 16
; WaveLimiterHint : 0
; COMPUTE_PGM_RSRC2:SCRATCH_EN: 0
; COMPUTE_PGM_RSRC2:USER_SGPR: 2
; COMPUTE_PGM_RSRC2:TRAP_HANDLER: 0
; COMPUTE_PGM_RSRC2:TGID_X_EN: 1
; COMPUTE_PGM_RSRC2:TGID_Y_EN: 1
; COMPUTE_PGM_RSRC2:TGID_Z_EN: 0
; COMPUTE_PGM_RSRC2:TIDIG_COMP_CNT: 0
	.section	.text._ZN9rocsolver6v33100L20stedcx_divide_kernelIdEEviPT_lS3_lPi,"axG",@progbits,_ZN9rocsolver6v33100L20stedcx_divide_kernelIdEEviPT_lS3_lPi,comdat
	.globl	_ZN9rocsolver6v33100L20stedcx_divide_kernelIdEEviPT_lS3_lPi ; -- Begin function _ZN9rocsolver6v33100L20stedcx_divide_kernelIdEEviPT_lS3_lPi
	.p2align	8
	.type	_ZN9rocsolver6v33100L20stedcx_divide_kernelIdEEviPT_lS3_lPi,@function
_ZN9rocsolver6v33100L20stedcx_divide_kernelIdEEviPT_lS3_lPi: ; @_ZN9rocsolver6v33100L20stedcx_divide_kernelIdEEviPT_lS3_lPi
; %bb.0:
	s_clause 0x1
	s_load_b32 s8, s[0:1], 0x0
	s_load_b64 s[10:11], s[0:1], 0x28
	s_bfe_u32 s2, ttmp6, 0x4000c
	s_and_b32 s3, ttmp6, 15
	s_add_co_i32 s2, s2, 1
	s_getreg_b32 s4, hwreg(HW_REG_IB_STS2, 6, 4)
	s_mul_i32 s2, ttmp9, s2
	s_mov_b32 s7, 0
	s_add_co_i32 s3, s3, s2
	s_mov_b32 s6, exec_lo
	s_wait_kmcnt 0x0
	s_ashr_i32 s9, s8, 31
	s_cmp_eq_u32 s4, 0
	s_mul_i32 s2, s8, 5
	s_cselect_b32 s14, ttmp9, s3
	s_add_co_i32 s2, s2, 2
	s_lshl_b64 s[16:17], s[8:9], 2
	s_mul_i32 s2, s2, s14
	s_delay_alu instid0(SALU_CYCLE_1) | instskip(NEXT) | instid1(SALU_CYCLE_1)
	s_ashr_i32 s3, s2, 31
	s_lshl_b64 s[12:13], s[2:3], 2
	s_delay_alu instid0(SALU_CYCLE_1) | instskip(NEXT) | instid1(SALU_CYCLE_1)
	s_add_nc_u64 s[2:3], s[10:11], s[12:13]
	s_add_nc_u64 s[4:5], s[2:3], s[16:17]
	s_load_b32 s18, s[4:5], 0x4
	s_wait_kmcnt 0x0
	v_cmpx_gt_i32_e64 s18, v0
	s_cbranch_execz .LBB20_21
; %bb.1:
	s_load_b256 s[20:27], s[0:1], 0x8
	s_wait_xcnt 0x0
	s_add_nc_u64 s[0:1], s[4:5], s[16:17]
	s_add_nc_u64 s[16:17], s[16:17], s[12:13]
	s_lshl_b64 s[8:9], s[8:9], 3
	s_ashr_i32 s15, s14, 31
	s_add_nc_u64 s[16:17], s[10:11], s[16:17]
	s_add_nc_u64 s[12:13], s[8:9], s[12:13]
	;; [unrolled: 1-line block ×5, first 2 shown]
	v_mov_b32_e32 v1, 0
	s_add_nc_u64 s[12:13], s[12:13], 12
	s_mov_b32 s19, 0
	s_wait_kmcnt 0x0
	s_mul_u64 s[16:17], s[22:23], s[14:15]
	s_mul_u64 s[14:15], s[26:27], s[14:15]
	s_lshl_b64 s[16:17], s[16:17], 3
	s_lshl_b64 s[22:23], s[14:15], 3
	s_add_nc_u64 s[14:15], s[20:21], s[16:17]
	s_add_nc_u64 s[16:17], s[24:25], s[22:23]
	s_branch .LBB20_3
.LBB20_2:                               ;   in Loop: Header=BB20_3 Depth=1
	s_wait_xcnt 0x0
	s_or_b32 exec_lo, exec_lo, s6
	v_add_nc_u32_e32 v0, 0x200, v0
	s_delay_alu instid0(VALU_DEP_1) | instskip(SKIP_1) | instid1(SALU_CYCLE_1)
	v_cmp_le_i32_e32 vcc_lo, s18, v0
	s_or_b32 s19, vcc_lo, s19
	s_and_not1_b32 exec_lo, exec_lo, s19
	s_cbranch_execz .LBB20_21
.LBB20_3:                               ; =>This Loop Header: Depth=1
                                        ;     Child Loop BB20_13 Depth 2
                                        ;       Child Loop BB20_14 Depth 3
                                        ;     Child Loop BB20_17 Depth 2
	v_lshl_add_u64 v[2:3], v[0:1], 2, s[2:3]
	s_mov_b32 s6, exec_lo
	v_mov_b32_e32 v14, 0
	global_load_b64 v[2:3], v[2:3], off
	s_wait_loadcnt 0x0
	v_sub_nc_u32_e32 v8, v3, v2
	s_wait_xcnt 0x0
	s_delay_alu instid0(VALU_DEP_1)
	v_cmpx_lt_i32_e32 2, v8
	s_cbranch_execz .LBB20_11
; %bb.4:                                ;   in Loop: Header=BB20_3 Depth=1
	v_mov_b32_e32 v14, 1
	s_mov_b32 s20, exec_lo
	v_cmpx_lt_u32_e32 4, v8
	s_cbranch_execz .LBB20_10
; %bb.5:                                ;   in Loop: Header=BB20_3 Depth=1
	v_mov_b32_e32 v14, 2
	s_mov_b32 s21, exec_lo
	v_cmpx_lt_u32_e32 32, v8
	;; [unrolled: 5-line block ×3, first 2 shown]
; %bb.7:                                ;   in Loop: Header=BB20_3 Depth=1
	v_cmp_gt_u32_e32 vcc_lo, 0x128, v8
	v_cndmask_b32_e64 v3, 7, 5, vcc_lo
	v_cmp_gt_u32_e32 vcc_lo, 0x79b, v8
	s_delay_alu instid0(VALU_DEP_2)
	v_cndmask_b32_e32 v14, 8, v3, vcc_lo
; %bb.8:                                ;   in Loop: Header=BB20_3 Depth=1
	s_or_b32 exec_lo, exec_lo, s22
.LBB20_9:                               ;   in Loop: Header=BB20_3 Depth=1
	s_delay_alu instid0(SALU_CYCLE_1)
	s_or_b32 exec_lo, exec_lo, s21
.LBB20_10:                              ;   in Loop: Header=BB20_3 Depth=1
	s_delay_alu instid0(SALU_CYCLE_1)
	s_or_b32 exec_lo, exec_lo, s20
.LBB20_11:                              ;   in Loop: Header=BB20_3 Depth=1
	s_delay_alu instid0(SALU_CYCLE_1) | instskip(SKIP_4) | instid1(VALU_DEP_1)
	s_or_b32 exec_lo, exec_lo, s6
	v_ashrrev_i32_e32 v3, 31, v2
	global_store_b32 v2, v8, s[4:5] offset:8 scale_offset
	s_mov_b32 s6, exec_lo
	v_lshlrev_b64_e32 v[6:7], 2, v[2:3]
	v_add_nc_u64_e32 v[4:5], s[0:1], v[6:7]
	s_wait_xcnt 0x0
	v_cmpx_ne_u32_e32 0, v14
	s_xor_b32 s20, exec_lo, s6
	s_cbranch_execz .LBB20_19
; %bb.12:                               ;   in Loop: Header=BB20_3 Depth=1
	v_add_nc_u64_e32 v[8:9], s[4:5], v[6:7]
	v_add_nc_u64_e32 v[10:11], s[8:9], v[6:7]
	s_mov_b32 s21, 0
	s_mov_b32 s22, 0
.LBB20_13:                              ;   Parent Loop BB20_3 Depth=1
                                        ; =>  This Loop Header: Depth=2
                                        ;       Child Loop BB20_14 Depth 3
	s_delay_alu instid0(SALU_CYCLE_1)
	s_lshl_b32 s6, 1, s22
	s_delay_alu instid0(VALU_DEP_1) | instid1(SALU_CYCLE_1)
	v_lshl_add_u64 v[12:13], s[6:7], 2, v[10:11]
	s_add_co_i32 s23, s6, 1
	s_lshl_b32 s6, s6, 1
.LBB20_14:                              ;   Parent Loop BB20_3 Depth=1
                                        ;     Parent Loop BB20_13 Depth=2
                                        ; =>    This Inner Loop Header: Depth=3
	global_load_b32 v3, v[12:13], off
	s_wait_xcnt 0x0
	v_add_nc_u64_e32 v[12:13], -4, v[12:13]
	v_lshl_add_u64 v[18:19], s[6:7], 2, v[8:9]
	s_add_co_i32 s23, s23, -1
	s_add_co_i32 s6, s6, -2
	s_cmp_lt_u32 s23, 2
	s_wait_loadcnt 0x0
	v_lshrrev_b32_e32 v15, 31, v3
	s_delay_alu instid0(VALU_DEP_1) | instskip(NEXT) | instid1(VALU_DEP_1)
	v_add_nc_u32_e32 v15, v3, v15
	v_dual_ashrrev_i32 v16, 1, v15 :: v_dual_bitop2_b32 v17, -2, v15 bitop3:0x40
	s_delay_alu instid0(VALU_DEP_1) | instskip(NEXT) | instid1(VALU_DEP_2)
	v_cmp_lt_i32_e32 vcc_lo, v17, v3
	v_add_co_ci_u32_e64 v17, null, 0, v16, vcc_lo
	global_store_b64 v[18:19], v[16:17], off
	s_cbranch_scc0 .LBB20_14
; %bb.15:                               ;   in Loop: Header=BB20_13 Depth=2
	s_add_co_i32 s22, s22, 1
	s_delay_alu instid0(SALU_CYCLE_1)
	v_cmp_eq_u32_e32 vcc_lo, s22, v14
	s_or_b32 s21, vcc_lo, s21
	s_wait_xcnt 0x0
	s_and_not1_b32 exec_lo, exec_lo, s21
	s_cbranch_execnz .LBB20_13
; %bb.16:                               ;   in Loop: Header=BB20_3 Depth=1
	s_or_b32 exec_lo, exec_lo, s21
	v_add_nc_u64_e32 v[8:9], s[12:13], v[6:7]
	v_add_nc_u64_e32 v[6:7], s[10:11], v[6:7]
	s_mov_b32 s21, 2
	s_mov_b32 s6, 0
	global_store_b32 v[4:5], v2, off offset:8
.LBB20_17:                              ;   Parent Loop BB20_3 Depth=1
                                        ; =>  This Inner Loop Header: Depth=2
	global_load_b32 v3, v[6:7], off
	s_wait_xcnt 0x0
	v_add_nc_u64_e32 v[6:7], 4, v[6:7]
	s_wait_loadcnt 0x0
	v_add_nc_u32_e32 v2, v3, v2
	s_delay_alu instid0(VALU_DEP_1) | instskip(NEXT) | instid1(VALU_DEP_1)
	v_ashrrev_i32_e32 v3, 31, v2
	v_lshl_add_u64 v[4:5], v[2:3], 3, s[14:15]
	v_lshrrev_b32_e64 v3, v14, s21
	s_add_co_i32 s21, s21, 1
	global_load_b64 v[16:17], v2, s[16:17] offset:-8 scale_offset
	global_load_b128 v[10:13], v[4:5], off offset:-8
	v_cmp_ne_u32_e32 vcc_lo, 0, v3
	s_or_b32 s6, vcc_lo, s6
	s_wait_loadcnt 0x0
	v_add_f64_e64 v[12:13], v[12:13], -v[16:17]
	v_add_f64_e64 v[10:11], v[10:11], -v[16:17]
	global_store_b32 v[8:9], v2, off
	s_wait_xcnt 0x0
	v_add_nc_u64_e32 v[8:9], 4, v[8:9]
	global_store_b128 v[4:5], v[10:13], off offset:-8
	s_wait_xcnt 0x0
	s_and_not1_b32 exec_lo, exec_lo, s6
	s_cbranch_execnz .LBB20_17
; %bb.18:                               ;   in Loop: Header=BB20_3 Depth=1
	s_or_b32 exec_lo, exec_lo, s6
                                        ; implicit-def: $vgpr4_vgpr5
                                        ; implicit-def: $vgpr2_vgpr3
.LBB20_19:                              ;   in Loop: Header=BB20_3 Depth=1
	s_and_not1_saveexec_b32 s6, s20
	s_cbranch_execz .LBB20_2
; %bb.20:                               ;   in Loop: Header=BB20_3 Depth=1
	global_store_b32 v[4:5], v2, off offset:8
	s_branch .LBB20_2
.LBB20_21:
	s_endpgm
	.section	.rodata,"a",@progbits
	.p2align	6, 0x0
	.amdhsa_kernel _ZN9rocsolver6v33100L20stedcx_divide_kernelIdEEviPT_lS3_lPi
		.amdhsa_group_segment_fixed_size 0
		.amdhsa_private_segment_fixed_size 0
		.amdhsa_kernarg_size 48
		.amdhsa_user_sgpr_count 2
		.amdhsa_user_sgpr_dispatch_ptr 0
		.amdhsa_user_sgpr_queue_ptr 0
		.amdhsa_user_sgpr_kernarg_segment_ptr 1
		.amdhsa_user_sgpr_dispatch_id 0
		.amdhsa_user_sgpr_kernarg_preload_length 0
		.amdhsa_user_sgpr_kernarg_preload_offset 0
		.amdhsa_user_sgpr_private_segment_size 0
		.amdhsa_wavefront_size32 1
		.amdhsa_uses_dynamic_stack 0
		.amdhsa_enable_private_segment 0
		.amdhsa_system_sgpr_workgroup_id_x 1
		.amdhsa_system_sgpr_workgroup_id_y 0
		.amdhsa_system_sgpr_workgroup_id_z 0
		.amdhsa_system_sgpr_workgroup_info 0
		.amdhsa_system_vgpr_workitem_id 0
		.amdhsa_next_free_vgpr 20
		.amdhsa_next_free_sgpr 28
		.amdhsa_named_barrier_count 0
		.amdhsa_reserve_vcc 1
		.amdhsa_float_round_mode_32 0
		.amdhsa_float_round_mode_16_64 0
		.amdhsa_float_denorm_mode_32 3
		.amdhsa_float_denorm_mode_16_64 3
		.amdhsa_fp16_overflow 0
		.amdhsa_memory_ordered 1
		.amdhsa_forward_progress 1
		.amdhsa_inst_pref_size 7
		.amdhsa_round_robin_scheduling 0
		.amdhsa_exception_fp_ieee_invalid_op 0
		.amdhsa_exception_fp_denorm_src 0
		.amdhsa_exception_fp_ieee_div_zero 0
		.amdhsa_exception_fp_ieee_overflow 0
		.amdhsa_exception_fp_ieee_underflow 0
		.amdhsa_exception_fp_ieee_inexact 0
		.amdhsa_exception_int_div_zero 0
	.end_amdhsa_kernel
	.section	.text._ZN9rocsolver6v33100L20stedcx_divide_kernelIdEEviPT_lS3_lPi,"axG",@progbits,_ZN9rocsolver6v33100L20stedcx_divide_kernelIdEEviPT_lS3_lPi,comdat
.Lfunc_end20:
	.size	_ZN9rocsolver6v33100L20stedcx_divide_kernelIdEEviPT_lS3_lPi, .Lfunc_end20-_ZN9rocsolver6v33100L20stedcx_divide_kernelIdEEviPT_lS3_lPi
                                        ; -- End function
	.set _ZN9rocsolver6v33100L20stedcx_divide_kernelIdEEviPT_lS3_lPi.num_vgpr, 20
	.set _ZN9rocsolver6v33100L20stedcx_divide_kernelIdEEviPT_lS3_lPi.num_agpr, 0
	.set _ZN9rocsolver6v33100L20stedcx_divide_kernelIdEEviPT_lS3_lPi.numbered_sgpr, 28
	.set _ZN9rocsolver6v33100L20stedcx_divide_kernelIdEEviPT_lS3_lPi.num_named_barrier, 0
	.set _ZN9rocsolver6v33100L20stedcx_divide_kernelIdEEviPT_lS3_lPi.private_seg_size, 0
	.set _ZN9rocsolver6v33100L20stedcx_divide_kernelIdEEviPT_lS3_lPi.uses_vcc, 1
	.set _ZN9rocsolver6v33100L20stedcx_divide_kernelIdEEviPT_lS3_lPi.uses_flat_scratch, 0
	.set _ZN9rocsolver6v33100L20stedcx_divide_kernelIdEEviPT_lS3_lPi.has_dyn_sized_stack, 0
	.set _ZN9rocsolver6v33100L20stedcx_divide_kernelIdEEviPT_lS3_lPi.has_recursion, 0
	.set _ZN9rocsolver6v33100L20stedcx_divide_kernelIdEEviPT_lS3_lPi.has_indirect_call, 0
	.section	.AMDGPU.csdata,"",@progbits
; Kernel info:
; codeLenInByte = 856
; TotalNumSgprs: 30
; NumVgprs: 20
; ScratchSize: 0
; MemoryBound: 0
; FloatMode: 240
; IeeeMode: 1
; LDSByteSize: 0 bytes/workgroup (compile time only)
; SGPRBlocks: 0
; VGPRBlocks: 1
; NumSGPRsForWavesPerEU: 30
; NumVGPRsForWavesPerEU: 20
; NamedBarCnt: 0
; Occupancy: 16
; WaveLimiterHint : 1
; COMPUTE_PGM_RSRC2:SCRATCH_EN: 0
; COMPUTE_PGM_RSRC2:USER_SGPR: 2
; COMPUTE_PGM_RSRC2:TRAP_HANDLER: 0
; COMPUTE_PGM_RSRC2:TGID_X_EN: 1
; COMPUTE_PGM_RSRC2:TGID_Y_EN: 0
; COMPUTE_PGM_RSRC2:TGID_Z_EN: 0
; COMPUTE_PGM_RSRC2:TIDIG_COMP_CNT: 0
	.section	.text._ZN9rocsolver6v33100L19stedcx_solve_kernelIdEEviPT_lS3_lS3_iilPiS3_S4_S2_S2_S2_,"axG",@progbits,_ZN9rocsolver6v33100L19stedcx_solve_kernelIdEEviPT_lS3_lS3_iilPiS3_S4_S2_S2_S2_,comdat
	.globl	_ZN9rocsolver6v33100L19stedcx_solve_kernelIdEEviPT_lS3_lS3_iilPiS3_S4_S2_S2_S2_ ; -- Begin function _ZN9rocsolver6v33100L19stedcx_solve_kernelIdEEviPT_lS3_lS3_iilPiS3_S4_S2_S2_S2_
	.p2align	8
	.type	_ZN9rocsolver6v33100L19stedcx_solve_kernelIdEEviPT_lS3_lS3_iilPiS3_S4_S2_S2_S2_,@function
_ZN9rocsolver6v33100L19stedcx_solve_kernelIdEEviPT_lS3_lS3_iilPiS3_S4_S2_S2_S2_: ; @_ZN9rocsolver6v33100L19stedcx_solve_kernelIdEEviPT_lS3_lS3_iilPiS3_S4_S2_S2_S2_
; %bb.0:
	s_clause 0x3
	s_load_b128 s[20:23], s[0:1], 0x28
	s_load_b256 s[4:11], s[0:1], 0x38
	s_load_b64 s[28:29], s[0:1], 0x68
	s_load_b128 s[24:27], s[0:1], 0x58
	s_bfe_u32 s2, ttmp6, 0x40014
	s_lshr_b32 s3, ttmp7, 16
	s_add_co_i32 s2, s2, 1
	s_bfe_u32 s12, ttmp6, 0x40008
	s_mul_i32 s2, s3, s2
	s_getreg_b32 s33, hwreg(HW_REG_IB_STS2, 6, 4)
	s_add_co_i32 s12, s12, s2
	s_cmp_eq_u32 s33, 0
	s_cselect_b32 s2, s3, s12
	s_mov_b32 s3, 0
	s_wait_kmcnt 0x0
	s_cmp_lg_u64 s[20:21], 0
	s_cbranch_scc0 .LBB21_251
; %bb.1:
	s_mul_u64 s[4:5], s[4:5], s[2:3]
	s_ashr_i32 s13, s22, 31
	s_lshl_b64 s[4:5], s[4:5], 3
	s_mov_b32 s12, s22
	s_add_nc_u64 s[4:5], s[20:21], s[4:5]
	s_lshl_b64 s[12:13], s[12:13], 3
	s_delay_alu instid0(SALU_CYCLE_1)
	s_add_nc_u64 s[4:5], s[4:5], s[12:13]
	s_and_not1_b32 vcc_lo, exec_lo, s3
	s_cbranch_vccnz .LBB21_3
.LBB21_2:
	s_mov_b32 s3, 0
                                        ; implicit-def: $sgpr4_sgpr5
.LBB21_3:
	s_load_b32 s30, s[0:1], 0x0
	s_bfe_u32 s12, ttmp6, 0x40010
	s_and_b32 s13, ttmp7, 0xffff
	s_add_co_i32 s12, s12, 1
	s_bfe_u32 s14, ttmp6, 0x40004
	s_mul_i32 s12, s13, s12
	s_delay_alu instid0(SALU_CYCLE_1)
	s_add_co_i32 s14, s14, s12
	s_cmp_eq_u32 s33, 0
	s_cselect_b32 s20, s13, s14
	s_wait_kmcnt 0x0
	s_mul_i32 s12, s30, 5
	s_ashr_i32 s31, s30, 31
	s_add_co_i32 s12, s12, 2
	s_lshl_b64 s[34:35], s[30:31], 2
	s_mul_i32 s12, s12, s2
	s_mov_b32 s31, 0
	s_ashr_i32 s13, s12, 31
	s_delay_alu instid0(SALU_CYCLE_1) | instskip(NEXT) | instid1(SALU_CYCLE_1)
	s_lshl_b64 s[12:13], s[12:13], 2
	s_add_nc_u64 s[10:11], s[10:11], s[12:13]
	s_delay_alu instid0(SALU_CYCLE_1)
	s_add_nc_u64 s[36:37], s[10:11], s[34:35]
	s_load_b32 s22, s[36:37], 0x4
	s_wait_kmcnt 0x0
	s_cmp_ge_i32 s20, s22
	s_cbranch_scc1 .LBB21_250
; %bb.4:
	s_clause 0x1
	s_load_b256 s[12:19], s[0:1], 0x8
	s_load_b32 s21, s[0:1], 0x7c
	v_mul_f64_e64 v[6:7], s[24:25], s[24:25]
	s_lshl_b64 s[38:39], s[2:3], 2
	s_wait_xcnt 0x0
	s_mul_i32 s1, s2, s30
	s_bfe_u32 s42, ttmp6, 0x4000c
	s_add_nc_u64 s[6:7], s[6:7], s[38:39]
	s_lshl_b32 s38, s1, 1
	s_add_co_i32 s42, s42, 1
	s_and_b32 s30, ttmp6, 15
	s_ashr_i32 s39, s38, 31
	s_mul_i32 s1, ttmp9, s42
	v_dual_mov_b32 v9, 0 :: v_dual_lshlrev_b32 v8, 3, v0
	s_lshl_b64 s[38:39], s[38:39], 3
	s_add_co_i32 s30, s30, s1
	v_mov_b64_e32 v[14:15], 0
	s_add_nc_u64 s[40:41], s[36:37], s[34:35]
	v_add_nc_u64_e32 v[10:11], s[4:5], v[8:9]
	s_mov_b32 s34, s23
	s_wait_kmcnt 0x0
	s_mul_u64 s[14:15], s[14:15], s[2:3]
	s_mul_u64 s[2:3], s[18:19], s[2:3]
	s_lshl_b64 s[14:15], s[14:15], 3
	s_lshl_b64 s[2:3], s[2:3], 3
	s_cmp_eq_u32 s33, 0
	s_add_nc_u64 s[16:17], s[16:17], s[2:3]
	s_add_nc_u64 s[12:13], s[12:13], s[14:15]
	s_cselect_b32 s14, ttmp9, s30
	v_add_nc_u64_e32 v[12:13], s[16:17], v[8:9]
	s_ashr_i32 s15, s14, 31
	s_ashr_i32 s35, s23, 31
	v_cmp_eq_u32_e64 s0, 0, v0
	s_add_nc_u64 s[8:9], s[8:9], s[38:39]
	s_and_b32 s33, 0xffff, s21
	s_lshl_b64 s[2:3], s[14:15], 2
	s_lshl_b64 s[48:49], s[34:35], 3
	s_add_nc_u64 s[18:19], s[36:37], s[2:3]
	s_add_nc_u64 s[36:37], s[40:41], s[2:3]
	;; [unrolled: 1-line block ×3, first 2 shown]
	s_lshl_b32 s40, s33, 3
	s_mov_b32 s41, s31
	s_add_nc_u64 s[42:43], s[8:9], -16
	s_mov_b64 s[44:45], 0x3ff6a09e667f3bcd
	s_add_nc_u64 s[46:47], s[8:9], -8
	s_add_nc_u64 s[50:51], s[16:17], -8
	s_sub_nc_u64 s[52:53], 0, s[48:49]
	s_add_nc_u64 s[54:55], s[12:13], -8
                                        ; implicit-def: $vgpr65
                                        ; implicit-def: $vgpr24_vgpr25
                                        ; implicit-def: $vgpr26_vgpr27
                                        ; implicit-def: $vgpr28_vgpr29
                                        ; implicit-def: $vgpr16_vgpr17
                                        ; implicit-def: $vgpr64
                                        ; implicit-def: $vgpr22_vgpr23
                                        ; implicit-def: $vgpr1
                                        ; implicit-def: $vgpr18_vgpr19
                                        ; implicit-def: $vgpr20_vgpr21
	s_branch .LBB21_7
.LBB21_5:                               ;   in Loop: Header=BB21_7 Depth=1
	s_or_b32 exec_lo, exec_lo, s1
	s_wait_storecnt 0x0
	s_barrier_signal -1
	s_barrier_wait -1
.LBB21_6:                               ;   in Loop: Header=BB21_7 Depth=1
	s_add_co_i32 s20, s20, 8
	s_delay_alu instid0(SALU_CYCLE_1)
	s_cmp_ge_i32 s20, s22
	s_cbranch_scc1 .LBB21_250
.LBB21_7:                               ; =>This Loop Header: Depth=1
                                        ;     Child Loop BB21_20 Depth 2
                                        ;       Child Loop BB21_28 Depth 3
                                        ;       Child Loop BB21_41 Depth 3
                                        ;       Child Loop BB21_51 Depth 3
                                        ;       Child Loop BB21_59 Depth 3
                                        ;       Child Loop BB21_164 Depth 3
                                        ;         Child Loop BB21_170 Depth 4
                                        ;         Child Loop BB21_190 Depth 4
	;; [unrolled: 1-line block ×3, first 2 shown]
                                        ;           Child Loop BB21_242 Depth 5
                                        ;       Child Loop BB21_81 Depth 3
                                        ;         Child Loop BB21_88 Depth 4
                                        ;         Child Loop BB21_108 Depth 4
	;; [unrolled: 1-line block ×3, first 2 shown]
                                        ;           Child Loop BB21_160 Depth 5
                                        ;       Child Loop BB21_71 Depth 3
                                        ;       Child Loop BB21_78 Depth 3
                                        ;     Child Loop BB21_247 Depth 2
	s_ashr_i32 s21, s20, 31
	s_delay_alu instid0(SALU_CYCLE_1) | instskip(NEXT) | instid1(SALU_CYCLE_1)
	s_lshl_b64 s[2:3], s[20:21], 2
	s_add_nc_u64 s[2:3], s[10:11], s[2:3]
	global_load_b64 v[2:3], v9, s[2:3]
	s_wait_loadcnt 0x0
	v_readfirstlane_b32 s1, v2
	v_readfirstlane_b32 s2, v3
	s_sub_co_i32 s15, s2, s1
	s_mov_b32 s2, 0
	s_cmp_lt_i32 s15, 3
	s_cbranch_scc1 .LBB21_12
; %bb.8:                                ;   in Loop: Header=BB21_7 Depth=1
	s_cmp_lt_u32 s15, 5
	s_mov_b32 s2, 1
	s_cbranch_scc1 .LBB21_12
; %bb.9:                                ;   in Loop: Header=BB21_7 Depth=1
	s_cmp_lt_u32 s15, 33
	s_mov_b32 s2, 2
	s_cbranch_scc1 .LBB21_12
; %bb.10:                               ;   in Loop: Header=BB21_7 Depth=1
	s_cmp_lt_u32 s15, 0xe9
	s_mov_b32 s2, 4
	s_cbranch_scc1 .LBB21_12
; %bb.11:                               ;   in Loop: Header=BB21_7 Depth=1
	s_cmp_lt_u32 s15, 0x128
	s_cselect_b32 s2, 5, 7
	s_cmp_lt_u32 s15, 0x79b
	s_cselect_b32 s2, s2, 8
.LBB21_12:                              ;   in Loop: Header=BB21_7 Depth=1
	s_delay_alu instid0(SALU_CYCLE_1) | instskip(NEXT) | instid1(SALU_CYCLE_1)
	s_lshl_b32 s2, 1, s2
	s_cmp_ge_i32 s14, s2
	s_cbranch_scc1 .LBB21_6
; %bb.13:                               ;   in Loop: Header=BB21_7 Depth=1
	v_mov_b32_e32 v2, s1
	s_clause 0x1
	global_load_b32 v3, v2, s[18:19] offset:8 scale_offset
	global_load_b32 v4, v2, s[36:37] offset:8 scale_offset
	s_wait_loadcnt 0x1
	v_readfirstlane_b32 s60, v3
	s_wait_loadcnt 0x0
	v_readfirstlane_b32 s58, v4
	s_and_saveexec_b32 s1, s0
; %bb.14:                               ;   in Loop: Header=BB21_7 Depth=1
	ds_store_2addr_b32 v9, v9, v9 offset0:6 offset1:9
; %bb.15:                               ;   in Loop: Header=BB21_7 Depth=1
	s_or_b32 exec_lo, exec_lo, s1
	s_wait_dscnt 0x0
	s_barrier_signal -1
	s_barrier_wait -1
	ds_load_2addr_b32 v[2:3], v9 offset0:6 offset1:9
	s_mul_i32 s15, s15, 30
	s_ashr_i32 s59, s58, 31
	s_add_co_i32 s56, s60, -1
	s_wait_dscnt 0x0
	v_cmp_gt_i32_e32 vcc_lo, s60, v2
	v_cmp_gt_i32_e64 s1, s15, v3
	v_readfirstlane_b32 s90, v2
	s_and_b32 s1, vcc_lo, s1
	s_delay_alu instid0(SALU_CYCLE_1)
	s_and_not1_b32 vcc_lo, exec_lo, s1
	s_cbranch_vccnz .LBB21_244
; %bb.16:                               ;   in Loop: Header=BB21_7 Depth=1
	s_mul_i32 s68, s58, s23
	s_lshl_b64 s[62:63], s[58:59], 3
	s_ashr_i32 s69, s68, 31
	s_lshl_b32 s70, s58, 1
	s_lshl_b64 s[78:79], s[68:69], 3
	s_add_nc_u64 s[2:3], s[4:5], s[62:63]
	s_add_nc_u64 s[80:81], s[62:63], s[78:79]
	s_ashr_i32 s71, s70, 31
	s_ashr_i32 s61, s60, 31
	v_add_nc_u64_e32 v[30:31], s[80:81], v[10:11]
	s_lshl_b64 s[84:85], s[70:71], 3
	s_add_nc_u64 s[68:69], s[2:3], s[78:79]
	s_lshl_b64 s[2:3], s[60:61], 3
	v_cmp_gt_i32_e64 s1, s60, v0
	s_add_nc_u64 s[88:89], s[2:3], s[84:85]
	s_add_nc_u64 s[64:65], s[12:13], s[62:63]
	;; [unrolled: 1-line block ×9, first 2 shown]
	s_add_nc_u64 s[82:83], s[2:3], -8
	s_add_nc_u64 s[84:85], s[8:9], s[84:85]
	s_add_nc_u64 s[86:87], s[54:55], s[62:63]
	;; [unrolled: 1-line block ×3, first 2 shown]
	s_branch .LBB21_20
.LBB21_17:                              ;   in Loop: Header=BB21_20 Depth=2
	s_or_b32 exec_lo, exec_lo, s2
.LBB21_18:                              ;   in Loop: Header=BB21_20 Depth=2
	s_wait_storecnt 0x0
	s_barrier_signal -1
	s_barrier_wait -1
.LBB21_19:                              ;   in Loop: Header=BB21_20 Depth=2
	ds_load_2addr_b32 v[2:3], v9 offset0:6 offset1:9
	s_wait_dscnt 0x0
	v_cmp_gt_i32_e32 vcc_lo, s60, v2
	v_cmp_gt_i32_e64 s2, s15, v3
	v_readfirstlane_b32 s90, v2
	s_and_b32 s2, vcc_lo, s2
	s_delay_alu instid0(SALU_CYCLE_1)
	s_and_not1_b32 vcc_lo, exec_lo, s2
	s_cbranch_vccnz .LBB21_244
.LBB21_20:                              ;   Parent Loop BB21_7 Depth=1
                                        ; =>  This Loop Header: Depth=2
                                        ;       Child Loop BB21_28 Depth 3
                                        ;       Child Loop BB21_41 Depth 3
	;; [unrolled: 1-line block ×5, first 2 shown]
                                        ;         Child Loop BB21_170 Depth 4
                                        ;         Child Loop BB21_190 Depth 4
	;; [unrolled: 1-line block ×3, first 2 shown]
                                        ;           Child Loop BB21_242 Depth 5
                                        ;       Child Loop BB21_81 Depth 3
                                        ;         Child Loop BB21_88 Depth 4
                                        ;         Child Loop BB21_108 Depth 4
	;; [unrolled: 1-line block ×3, first 2 shown]
                                        ;           Child Loop BB21_160 Depth 5
                                        ;       Child Loop BB21_71 Depth 3
                                        ;       Child Loop BB21_78 Depth 3
	s_and_saveexec_b32 s21, s0
	s_cbranch_execz .LBB21_44
; %bb.21:                               ;   in Loop: Header=BB21_20 Depth=2
	s_cmp_lt_i32 s90, 1
	s_cbranch_scc1 .LBB21_23
; %bb.22:                               ;   in Loop: Header=BB21_20 Depth=2
	v_mov_b32_e32 v2, s90
	global_store_b64 v2, v[14:15], s[66:67] offset:-8 scale_offset
.LBB21_23:                              ;   in Loop: Header=BB21_20 Depth=2
	s_mov_b32 s2, -1
	s_mov_b32 s92, 0
	s_cmp_lt_i32 s90, s56
	s_mov_b32 s30, 0
	s_cbranch_scc1 .LBB21_25
; %bb.24:                               ;   in Loop: Header=BB21_20 Depth=2
	s_ashr_i32 s91, s90, 31
	s_mov_b32 s2, 0
	s_mov_b32 s30, -1
.LBB21_25:                              ;   in Loop: Header=BB21_20 Depth=2
	s_and_not1_b32 vcc_lo, exec_lo, s2
	s_cbranch_vccnz .LBB21_30
; %bb.26:                               ;   in Loop: Header=BB21_20 Depth=2
	s_ashr_i32 s91, s90, 31
	s_delay_alu instid0(SALU_CYCLE_1)
	s_lshl_b64 s[92:93], s[90:91], 3
	s_mov_b64 s[94:95], s[90:91]
	s_add_nc_u64 s[2:3], s[66:67], s[92:93]
	s_add_nc_u64 s[92:93], s[72:73], s[92:93]
	s_branch .LBB21_28
.LBB21_27:                              ;   in Loop: Header=BB21_28 Depth=3
	s_and_not1_b32 vcc_lo, exec_lo, s100
	s_cbranch_vccz .LBB21_31
.LBB21_28:                              ;   Parent Loop BB21_7 Depth=1
                                        ;     Parent Loop BB21_20 Depth=2
                                        ; =>    This Inner Loop Header: Depth=3
	s_clause 0x1
	global_load_b128 v[2:5], v9, s[92:93] offset:-8
	global_load_b64 v[34:35], v9, s[2:3]
	s_mov_b32 s100, -1
	s_wait_loadcnt 0x1
	v_cmp_gt_f64_e64 s57, 0x10000000, |v[2:3]|
	v_cmp_gt_f64_e64 s96, 0x10000000, |v[4:5]|
	s_and_b32 s57, s57, exec_lo
	s_cselect_b32 s57, 0x100, 0
	s_cselect_b32 s98, 0xffffff80, 0
	s_and_b32 s96, s96, exec_lo
	s_cselect_b32 s96, 0x100, 0
	v_ldexp_f64 v[2:3], |v[2:3]|, s57
	v_ldexp_f64 v[4:5], |v[4:5]|, s96
	s_mov_b64 s[96:97], s[2:3]
	s_wait_xcnt 0x0
	s_cselect_b32 s2, 0xffffff80, 0
	s_mov_b32 s57, -1
	s_delay_alu instid0(VALU_DEP_2) | instskip(NEXT) | instid1(VALU_DEP_1)
	v_rsq_f64_e32 v[24:25], v[2:3]
	v_rsq_f64_e32 v[26:27], v[4:5]
	v_cmp_class_f64_e64 vcc_lo, v[2:3], 0x260
	s_delay_alu instid0(TRANS32_DEP_2) | instskip(SKIP_1) | instid1(TRANS32_DEP_1)
	v_mul_f64_e32 v[28:29], v[2:3], v[24:25]
	v_mul_f64_e32 v[24:25], 0.5, v[24:25]
	v_mul_f64_e32 v[32:33], v[4:5], v[26:27]
	v_mul_f64_e32 v[26:27], 0.5, v[26:27]
	s_delay_alu instid0(VALU_DEP_3) | instskip(NEXT) | instid1(VALU_DEP_2)
	v_fma_f64 v[36:37], -v[24:25], v[28:29], 0.5
	v_fma_f64 v[38:39], -v[26:27], v[32:33], 0.5
	s_delay_alu instid0(VALU_DEP_2) | instskip(SKIP_1) | instid1(VALU_DEP_3)
	v_fmac_f64_e32 v[28:29], v[28:29], v[36:37]
	v_fmac_f64_e32 v[24:25], v[24:25], v[36:37]
	;; [unrolled: 1-line block ×4, first 2 shown]
	s_delay_alu instid0(VALU_DEP_4) | instskip(NEXT) | instid1(VALU_DEP_3)
	v_fma_f64 v[36:37], -v[28:29], v[28:29], v[2:3]
	v_fma_f64 v[38:39], -v[32:33], v[32:33], v[4:5]
	s_delay_alu instid0(VALU_DEP_2) | instskip(NEXT) | instid1(VALU_DEP_2)
	v_fmac_f64_e32 v[28:29], v[36:37], v[24:25]
	v_fmac_f64_e32 v[32:33], v[38:39], v[26:27]
	s_delay_alu instid0(VALU_DEP_2) | instskip(NEXT) | instid1(VALU_DEP_2)
	v_fma_f64 v[36:37], -v[28:29], v[28:29], v[2:3]
	v_fma_f64 v[38:39], -v[32:33], v[32:33], v[4:5]
	s_delay_alu instid0(VALU_DEP_2) | instskip(NEXT) | instid1(VALU_DEP_2)
	v_fmac_f64_e32 v[28:29], v[36:37], v[24:25]
	v_fmac_f64_e32 v[32:33], v[38:39], v[26:27]
	s_delay_alu instid0(VALU_DEP_2) | instskip(SKIP_1) | instid1(VALU_DEP_2)
	v_ldexp_f64 v[24:25], v[28:29], s98
	s_mov_b64 s[98:99], s[94:95]
	v_ldexp_f64 v[26:27], v[32:33], s2
	v_cmp_class_f64_e64 s2, v[4:5], 0x260
                                        ; implicit-def: $sgpr94_sgpr95
	s_delay_alu instid0(VALU_DEP_3) | instskip(NEXT) | instid1(VALU_DEP_2)
	v_dual_cndmask_b32 v3, v25, v3 :: v_dual_cndmask_b32 v2, v24, v2
	v_dual_cndmask_b32 v4, v26, v4, s2 :: v_dual_cndmask_b32 v5, v27, v5, s2
	s_delay_alu instid0(VALU_DEP_1) | instskip(NEXT) | instid1(VALU_DEP_1)
	v_mul_f64_e32 v[2:3], v[2:3], v[4:5]
	v_mul_f64_e32 v[2:3], s[24:25], v[2:3]
	s_wait_loadcnt 0x0
	s_delay_alu instid0(VALU_DEP_1)
	v_cmp_nle_f64_e64 s2, |v[34:35]|, v[2:3]
	s_and_b32 vcc_lo, exec_lo, s2
                                        ; implicit-def: $sgpr2_sgpr3
	s_cbranch_vccz .LBB21_27
; %bb.29:                               ;   in Loop: Header=BB21_28 Depth=3
	s_add_nc_u64 s[94:95], s[98:99], 1
	s_add_nc_u64 s[2:3], s[96:97], 8
	s_cmp_ge_i32 s94, s56
	s_add_nc_u64 s[92:93], s[92:93], 8
	s_mov_b32 s57, 0
	s_cselect_b32 s100, -1, 0
	s_branch .LBB21_27
.LBB21_30:                              ;   in Loop: Header=BB21_20 Depth=2
	s_mov_b32 s57, s90
	s_mov_b64 s[2:3], s[90:91]
	s_and_b32 vcc_lo, exec_lo, s30
	s_cbranch_vccnz .LBB21_34
	s_branch .LBB21_35
.LBB21_31:                              ;   in Loop: Header=BB21_20 Depth=2
	s_xor_b32 s2, s57, -1
	s_mov_b32 s92, -1
	s_and_b32 vcc_lo, exec_lo, s2
                                        ; implicit-def: $sgpr2_sgpr3
	s_cbranch_vccz .LBB21_33
; %bb.32:                               ;   in Loop: Header=BB21_20 Depth=2
	s_ashr_i32 s57, s56, 31
	s_mov_b32 s30, -1
	s_mov_b32 s92, 0
	s_mov_b64 s[2:3], s[56:57]
.LBB21_33:                              ;   in Loop: Header=BB21_20 Depth=2
	v_mov_b64_e32 v[24:25], s[98:99]
	v_mov_b64_e32 v[26:27], s[96:97]
	;; [unrolled: 1-line block ×3, first 2 shown]
	v_mov_b32_e32 v65, s98
	s_mov_b32 s57, s56
	s_and_b32 vcc_lo, exec_lo, s30
	s_cbranch_vccz .LBB21_35
.LBB21_34:                              ;   in Loop: Header=BB21_20 Depth=2
	s_wait_xcnt 0x0
	v_mov_b32_e32 v2, s57
	ds_store_b32 v9, v2 offset:20
.LBB21_35:                              ;   in Loop: Header=BB21_20 Depth=2
	v_mov_b64_e32 v[4:5], s[90:91]
	s_wait_xcnt 0x0
	v_mov_b64_e32 v[2:3], s[2:3]
	v_mov_b32_e32 v8, s57
	s_and_not1_b32 vcc_lo, exec_lo, s92
	s_cbranch_vccnz .LBB21_37
; %bb.36:                               ;   in Loop: Header=BB21_20 Depth=2
	v_mov_b64_e32 v[4:5], v[28:29]
	v_mov_b64_e32 v[2:3], v[24:25]
	v_mov_b32_e32 v8, v65
	ds_store_b32 v9, v65 offset:20
	global_store_b64 v[26:27], v[14:15], off
.LBB21_37:                              ;   in Loop: Header=BB21_20 Depth=2
	s_delay_alu instid0(VALU_DEP_2)
	v_lshl_add_u64 v[2:3], v[2:3], 3, s[64:65]
	v_lshl_add_u64 v[32:33], v[4:5], 3, s[64:65]
	s_clause 0x1
	global_load_b64 v[2:3], v[2:3], off
	global_load_b64 v[32:33], v[32:33], off
	s_wait_loadcnt 0x0
	v_cmp_lt_f64_e64 s3, |v[2:3]|, |v[32:33]|
	s_wait_xcnt 0x0
	v_dual_mov_b32 v33, s90 :: v_dual_add_nc_u32 v32, 1, v8
	ds_store_2addr_b32 v9, v8, v8 offset0:8 offset1:10
	ds_store_b32 v9, v33 offset:16
	ds_store_b64 v9, v[32:33] offset:24
	s_and_saveexec_b32 s2, s3
; %bb.38:                               ;   in Loop: Header=BB21_20 Depth=2
	v_mov_b32_e32 v32, s90
	ds_store_2addr_b32 v9, v8, v32 offset0:4 offset1:8
; %bb.39:                               ;   in Loop: Header=BB21_20 Depth=2
	s_or_b32 exec_lo, exec_lo, s2
	v_and_b32_e32 v3, 0x7fffffff, v3
	s_mov_b32 s2, exec_lo
	v_cmpx_lt_i32_e64 s90, v8
	s_cbranch_execz .LBB21_43
; %bb.40:                               ;   in Loop: Header=BB21_20 Depth=2
	v_lshlrev_b64_e32 v[32:33], 3, v[4:5]
	s_mov_b32 s3, 0
	s_delay_alu instid0(VALU_DEP_1)
	v_add_nc_u64_e32 v[4:5], s[74:75], v[32:33]
	v_add_nc_u64_e32 v[32:33], s[66:67], v[32:33]
.LBB21_41:                              ;   Parent Loop BB21_7 Depth=1
                                        ;     Parent Loop BB21_20 Depth=2
                                        ; =>    This Inner Loop Header: Depth=3
	global_load_b64 v[34:35], v[32:33], off
	global_load_b64 v[36:37], v[4:5], off
	v_max_num_f64_e32 v[2:3], v[2:3], v[2:3]
	s_add_co_i32 s90, s90, 1
	s_wait_xcnt 0x0
	v_add_nc_u64_e32 v[4:5], 8, v[4:5]
	v_cmp_ge_i32_e32 vcc_lo, s90, v8
	v_add_nc_u64_e32 v[32:33], 8, v[32:33]
	s_or_b32 s3, vcc_lo, s3
	s_wait_loadcnt 0x1
	v_max_num_f64_e64 v[34:35], |v[34:35]|, |v[34:35]|
	s_wait_loadcnt 0x0
	v_max_num_f64_e64 v[36:37], |v[36:37]|, |v[36:37]|
	s_delay_alu instid0(VALU_DEP_1) | instskip(NEXT) | instid1(VALU_DEP_1)
	v_max_num_f64_e32 v[34:35], v[36:37], v[34:35]
	v_max_num_f64_e32 v[2:3], v[2:3], v[34:35]
	s_and_not1_b32 exec_lo, exec_lo, s3
	s_cbranch_execnz .LBB21_41
; %bb.42:                               ;   in Loop: Header=BB21_20 Depth=2
	s_or_b32 exec_lo, exec_lo, s3
.LBB21_43:                              ;   in Loop: Header=BB21_20 Depth=2
	s_delay_alu instid0(SALU_CYCLE_1)
	s_or_b32 exec_lo, exec_lo, s2
	ds_store_b64 v9, v[2:3] offset:8
.LBB21_44:                              ;   in Loop: Header=BB21_20 Depth=2
	s_or_b32 exec_lo, exec_lo, s21
	s_wait_storecnt_dscnt 0x0
	s_barrier_signal -1
	s_barrier_wait -1
	ds_load_b64 v[2:3], v9 offset:8
	ds_load_2addr_b32 v[4:5], v9 offset0:4 offset1:8
	s_wait_dscnt 0x1
	v_cmp_eq_f64_e32 vcc_lo, 0, v[2:3]
	s_wait_dscnt 0x0
	v_cmp_eq_u32_e64 s2, v5, v4
	s_or_b32 s2, s2, vcc_lo
	s_delay_alu instid0(SALU_CYCLE_1)
	s_and_b32 vcc_lo, exec_lo, s2
	s_cbranch_vccnz .LBB21_19
; %bb.45:                               ;   in Loop: Header=BB21_20 Depth=2
	v_cmp_nlt_f64_e32 vcc_lo, s[28:29], v[2:3]
	s_mov_b32 s2, -1
	s_cbranch_vccz .LBB21_54
; %bb.46:                               ;   in Loop: Header=BB21_20 Depth=2
	v_cmp_ngt_f64_e32 vcc_lo, s[26:27], v[2:3]
	s_cbranch_vccnz .LBB21_53
; %bb.47:                               ;   in Loop: Header=BB21_20 Depth=2
	v_div_scale_f64 v[4:5], null, s[26:27], s[26:27], v[2:3]
	s_delay_alu instid0(VALU_DEP_1) | instskip(SKIP_1) | instid1(TRANS32_DEP_1)
	v_rcp_f64_e32 v[32:33], v[4:5]
	v_nop
	v_fma_f64 v[34:35], -v[4:5], v[32:33], 1.0
	s_delay_alu instid0(VALU_DEP_1) | instskip(NEXT) | instid1(VALU_DEP_1)
	v_fmac_f64_e32 v[32:33], v[32:33], v[34:35]
	v_fma_f64 v[34:35], -v[4:5], v[32:33], 1.0
	s_delay_alu instid0(VALU_DEP_1) | instskip(SKIP_1) | instid1(VALU_DEP_1)
	v_fmac_f64_e32 v[32:33], v[32:33], v[34:35]
	v_div_scale_f64 v[34:35], vcc_lo, v[2:3], s[26:27], v[2:3]
	v_mul_f64_e32 v[36:37], v[34:35], v[32:33]
	s_delay_alu instid0(VALU_DEP_1) | instskip(NEXT) | instid1(VALU_DEP_1)
	v_fma_f64 v[4:5], -v[4:5], v[36:37], v[34:35]
	v_div_fmas_f64 v[4:5], v[4:5], v[32:33], v[36:37]
	ds_load_2addr_b32 v[32:33], v9 offset0:7 offset1:10
	v_div_fixup_f64 v[4:5], v[4:5], s[26:27], v[2:3]
	s_and_saveexec_b32 s2, s0
	s_cbranch_execz .LBB21_49
; %bb.48:                               ;   in Loop: Header=BB21_20 Depth=2
	s_wait_dscnt 0x0
	global_load_b64 v[34:35], v33, s[64:65] scale_offset
	s_wait_loadcnt 0x0
	v_mul_f64_e32 v[34:35], v[4:5], v[34:35]
	global_store_b64 v33, v[34:35], s[64:65] scale_offset
.LBB21_49:                              ;   in Loop: Header=BB21_20 Depth=2
	s_wait_xcnt 0x0
	s_or_b32 exec_lo, exec_lo, s2
	s_wait_dscnt 0x0
	v_add_nc_u32_e32 v34, v32, v0
	s_mov_b32 s2, exec_lo
	s_delay_alu instid0(VALU_DEP_1)
	v_cmpx_lt_i32_e64 v34, v33
	s_cbranch_execz .LBB21_52
; %bb.50:                               ;   in Loop: Header=BB21_20 Depth=2
	v_ashrrev_i32_e32 v35, 31, v34
	s_mov_b32 s3, 0
	s_delay_alu instid0(VALU_DEP_1)
	v_lshl_add_u64 v[36:37], v[34:35], 3, s[62:63]
.LBB21_51:                              ;   Parent Loop BB21_7 Depth=1
                                        ;     Parent Loop BB21_20 Depth=2
                                        ; =>    This Inner Loop Header: Depth=3
	s_delay_alu instid0(VALU_DEP_1)
	v_add_nc_u64_e32 v[38:39], s[12:13], v[36:37]
	v_add_nc_u64_e32 v[42:43], s[16:17], v[36:37]
	;; [unrolled: 1-line block ×3, first 2 shown]
	v_add_nc_u32_e32 v34, s33, v34
	global_load_b64 v[40:41], v[38:39], off
	v_cmp_ge_i32_e32 vcc_lo, v34, v33
	s_or_b32 s3, vcc_lo, s3
	s_wait_loadcnt 0x0
	v_mul_f64_e32 v[40:41], v[4:5], v[40:41]
	global_store_b64 v[38:39], v[40:41], off
	global_load_b64 v[38:39], v[42:43], off
	s_wait_loadcnt 0x0
	v_mul_f64_e32 v[38:39], v[4:5], v[38:39]
	global_store_b64 v[42:43], v[38:39], off
	s_wait_xcnt 0x0
	s_and_not1_b32 exec_lo, exec_lo, s3
	s_cbranch_execnz .LBB21_51
.LBB21_52:                              ;   in Loop: Header=BB21_20 Depth=2
	s_or_b32 exec_lo, exec_lo, s2
.LBB21_53:                              ;   in Loop: Header=BB21_20 Depth=2
	s_mov_b32 s2, 0
.LBB21_54:                              ;   in Loop: Header=BB21_20 Depth=2
	s_delay_alu instid0(SALU_CYCLE_1)
	s_and_not1_b32 vcc_lo, exec_lo, s2
	s_cbranch_vccnz .LBB21_61
; %bb.55:                               ;   in Loop: Header=BB21_20 Depth=2
	v_div_scale_f64 v[4:5], null, s[28:29], s[28:29], v[2:3]
	s_delay_alu instid0(VALU_DEP_1) | instskip(SKIP_1) | instid1(TRANS32_DEP_1)
	v_rcp_f64_e32 v[32:33], v[4:5]
	v_nop
	v_fma_f64 v[34:35], -v[4:5], v[32:33], 1.0
	s_delay_alu instid0(VALU_DEP_1) | instskip(NEXT) | instid1(VALU_DEP_1)
	v_fmac_f64_e32 v[32:33], v[32:33], v[34:35]
	v_fma_f64 v[34:35], -v[4:5], v[32:33], 1.0
	s_delay_alu instid0(VALU_DEP_1) | instskip(SKIP_1) | instid1(VALU_DEP_1)
	v_fmac_f64_e32 v[32:33], v[32:33], v[34:35]
	v_div_scale_f64 v[34:35], vcc_lo, v[2:3], s[28:29], v[2:3]
	v_mul_f64_e32 v[36:37], v[34:35], v[32:33]
	s_delay_alu instid0(VALU_DEP_1) | instskip(NEXT) | instid1(VALU_DEP_1)
	v_fma_f64 v[4:5], -v[4:5], v[36:37], v[34:35]
	v_div_fmas_f64 v[4:5], v[4:5], v[32:33], v[36:37]
	s_delay_alu instid0(VALU_DEP_1)
	v_div_fixup_f64 v[2:3], v[4:5], s[28:29], v[2:3]
	ds_load_2addr_b32 v[4:5], v9 offset0:7 offset1:10
	s_and_saveexec_b32 s2, s0
	s_cbranch_execz .LBB21_57
; %bb.56:                               ;   in Loop: Header=BB21_20 Depth=2
	s_wait_dscnt 0x0
	global_load_b64 v[32:33], v5, s[64:65] scale_offset
	s_wait_loadcnt 0x0
	v_mul_f64_e32 v[32:33], v[2:3], v[32:33]
	global_store_b64 v5, v[32:33], s[64:65] scale_offset
.LBB21_57:                              ;   in Loop: Header=BB21_20 Depth=2
	s_wait_xcnt 0x0
	s_or_b32 exec_lo, exec_lo, s2
	s_wait_dscnt 0x0
	v_add_nc_u32_e32 v32, v4, v0
	s_mov_b32 s2, exec_lo
	s_delay_alu instid0(VALU_DEP_1)
	v_cmpx_lt_i32_e64 v32, v5
	s_cbranch_execz .LBB21_60
; %bb.58:                               ;   in Loop: Header=BB21_20 Depth=2
	v_ashrrev_i32_e32 v33, 31, v32
	s_mov_b32 s3, 0
	s_delay_alu instid0(VALU_DEP_1)
	v_lshl_add_u64 v[34:35], v[32:33], 3, s[62:63]
.LBB21_59:                              ;   Parent Loop BB21_7 Depth=1
                                        ;     Parent Loop BB21_20 Depth=2
                                        ; =>    This Inner Loop Header: Depth=3
	s_delay_alu instid0(VALU_DEP_1)
	v_add_nc_u64_e32 v[36:37], s[12:13], v[34:35]
	v_add_nc_u64_e32 v[40:41], s[16:17], v[34:35]
	;; [unrolled: 1-line block ×3, first 2 shown]
	v_add_nc_u32_e32 v32, s33, v32
	global_load_b64 v[38:39], v[36:37], off
	v_cmp_ge_i32_e32 vcc_lo, v32, v5
	s_or_b32 s3, vcc_lo, s3
	s_wait_loadcnt 0x0
	v_mul_f64_e32 v[38:39], v[2:3], v[38:39]
	global_store_b64 v[36:37], v[38:39], off
	global_load_b64 v[36:37], v[40:41], off
	s_wait_loadcnt 0x0
	v_mul_f64_e32 v[36:37], v[2:3], v[36:37]
	global_store_b64 v[40:41], v[36:37], off
	s_wait_xcnt 0x0
	s_and_not1_b32 exec_lo, exec_lo, s3
	s_cbranch_execnz .LBB21_59
.LBB21_60:                              ;   in Loop: Header=BB21_20 Depth=2
	s_or_b32 exec_lo, exec_lo, s2
.LBB21_61:                              ;   in Loop: Header=BB21_20 Depth=2
	s_wait_storecnt 0x0
	s_barrier_signal -1
	s_barrier_wait -1
	ds_load_b64 v[34:35], v9 offset:32
	ds_load_b32 v32, v9 offset:16
	s_mov_b32 s21, -1
                                        ; implicit-def: $vgpr38_vgpr39
                                        ; implicit-def: $vgpr36_vgpr37
                                        ; implicit-def: $vgpr33
	s_wait_dscnt 0x1
	v_cmp_gt_i32_e64 s2, s15, v35
	s_wait_dscnt 0x0
	v_cmp_lt_i32_e32 vcc_lo, v34, v32
	s_delay_alu instid0(VALU_DEP_2) | instskip(NEXT) | instid1(VALU_DEP_1)
	v_cndmask_b32_e64 v2, 0, 1, s2
	v_cmp_ne_u32_e64 s3, 1, v2
	s_cbranch_vccnz .LBB21_64
; %bb.62:                               ;   in Loop: Header=BB21_20 Depth=2
	v_mov_b64_e32 v[38:39], v[20:21]
	v_mov_b64_e32 v[36:37], v[18:19]
	v_dual_mov_b32 v33, v1 :: v_dual_mov_b32 v47, v35
	v_dual_mov_b32 v46, v34 :: v_dual_mov_b32 v40, v32
	s_and_b32 vcc_lo, exec_lo, s3
	s_cbranch_vccz .LBB21_164
.LBB21_63:                              ;   in Loop: Header=BB21_20 Depth=2
	s_mov_b32 s21, 0
.LBB21_64:                              ;   in Loop: Header=BB21_20 Depth=2
	s_delay_alu instid0(SALU_CYCLE_1)
	s_and_not1_b32 vcc_lo, exec_lo, s21
	s_cbranch_vccz .LBB21_81
; %bb.65:                               ;   in Loop: Header=BB21_20 Depth=2
	v_mov_b64_e32 v[18:19], v[36:37]
	v_mov_b64_e32 v[20:21], v[38:39]
	v_mov_b32_e32 v1, v33
.LBB21_66:                              ;   in Loop: Header=BB21_20 Depth=2
	s_barrier_signal -1
	s_barrier_wait -1
	ds_load_b64 v[2:3], v9 offset:8
	s_wait_dscnt 0x0
	v_cmp_nlt_f64_e32 vcc_lo, s[28:29], v[2:3]
	s_cbranch_vccnz .LBB21_73
; %bb.67:                               ;   in Loop: Header=BB21_20 Depth=2
	v_div_scale_f64 v[4:5], null, v[2:3], v[2:3], s[28:29]
	s_delay_alu instid0(VALU_DEP_1) | instskip(SKIP_1) | instid1(TRANS32_DEP_1)
	v_rcp_f64_e32 v[32:33], v[4:5]
	v_nop
	v_fma_f64 v[34:35], -v[4:5], v[32:33], 1.0
	s_delay_alu instid0(VALU_DEP_1) | instskip(NEXT) | instid1(VALU_DEP_1)
	v_fmac_f64_e32 v[32:33], v[32:33], v[34:35]
	v_fma_f64 v[34:35], -v[4:5], v[32:33], 1.0
	s_delay_alu instid0(VALU_DEP_1) | instskip(SKIP_1) | instid1(VALU_DEP_1)
	v_fmac_f64_e32 v[32:33], v[32:33], v[34:35]
	v_div_scale_f64 v[34:35], vcc_lo, s[28:29], v[2:3], s[28:29]
	v_mul_f64_e32 v[36:37], v[34:35], v[32:33]
	s_delay_alu instid0(VALU_DEP_1) | instskip(NEXT) | instid1(VALU_DEP_1)
	v_fma_f64 v[4:5], -v[4:5], v[36:37], v[34:35]
	v_div_fmas_f64 v[4:5], v[4:5], v[32:33], v[36:37]
	ds_load_2addr_b32 v[32:33], v9 offset0:7 offset1:10
	v_div_fixup_f64 v[4:5], v[4:5], v[2:3], s[28:29]
	s_and_saveexec_b32 s2, s0
	s_cbranch_execz .LBB21_69
; %bb.68:                               ;   in Loop: Header=BB21_20 Depth=2
	s_wait_dscnt 0x0
	global_load_b64 v[34:35], v33, s[64:65] scale_offset
	s_wait_loadcnt 0x0
	v_mul_f64_e32 v[34:35], v[4:5], v[34:35]
	global_store_b64 v33, v[34:35], s[64:65] scale_offset
.LBB21_69:                              ;   in Loop: Header=BB21_20 Depth=2
	s_wait_xcnt 0x0
	s_or_b32 exec_lo, exec_lo, s2
	s_wait_dscnt 0x0
	v_add_nc_u32_e32 v34, v32, v0
	s_mov_b32 s2, exec_lo
	s_delay_alu instid0(VALU_DEP_1)
	v_cmpx_lt_i32_e64 v34, v33
	s_cbranch_execz .LBB21_72
; %bb.70:                               ;   in Loop: Header=BB21_20 Depth=2
	v_ashrrev_i32_e32 v35, 31, v34
	s_mov_b32 s3, 0
	s_delay_alu instid0(VALU_DEP_1)
	v_lshl_add_u64 v[36:37], v[34:35], 3, s[62:63]
.LBB21_71:                              ;   Parent Loop BB21_7 Depth=1
                                        ;     Parent Loop BB21_20 Depth=2
                                        ; =>    This Inner Loop Header: Depth=3
	s_delay_alu instid0(VALU_DEP_1)
	v_add_nc_u64_e32 v[38:39], s[12:13], v[36:37]
	v_add_nc_u64_e32 v[42:43], s[16:17], v[36:37]
	;; [unrolled: 1-line block ×3, first 2 shown]
	v_add_nc_u32_e32 v34, s33, v34
	global_load_b64 v[40:41], v[38:39], off
	v_cmp_ge_i32_e32 vcc_lo, v34, v33
	s_or_b32 s3, vcc_lo, s3
	s_wait_loadcnt 0x0
	v_mul_f64_e32 v[40:41], v[4:5], v[40:41]
	global_store_b64 v[38:39], v[40:41], off
	global_load_b64 v[38:39], v[42:43], off
	s_wait_loadcnt 0x0
	v_mul_f64_e32 v[38:39], v[4:5], v[38:39]
	global_store_b64 v[42:43], v[38:39], off
	s_wait_xcnt 0x0
	s_and_not1_b32 exec_lo, exec_lo, s3
	s_cbranch_execnz .LBB21_71
.LBB21_72:                              ;   in Loop: Header=BB21_20 Depth=2
	s_or_b32 exec_lo, exec_lo, s2
.LBB21_73:                              ;   in Loop: Header=BB21_20 Depth=2
	v_cmp_ngt_f64_e32 vcc_lo, s[26:27], v[2:3]
	s_cbranch_vccnz .LBB21_18
; %bb.74:                               ;   in Loop: Header=BB21_20 Depth=2
	v_div_scale_f64 v[4:5], null, v[2:3], v[2:3], s[26:27]
	s_delay_alu instid0(VALU_DEP_1) | instskip(SKIP_1) | instid1(TRANS32_DEP_1)
	v_rcp_f64_e32 v[32:33], v[4:5]
	v_nop
	v_fma_f64 v[34:35], -v[4:5], v[32:33], 1.0
	s_delay_alu instid0(VALU_DEP_1) | instskip(NEXT) | instid1(VALU_DEP_1)
	v_fmac_f64_e32 v[32:33], v[32:33], v[34:35]
	v_fma_f64 v[34:35], -v[4:5], v[32:33], 1.0
	s_delay_alu instid0(VALU_DEP_1) | instskip(SKIP_1) | instid1(VALU_DEP_1)
	v_fmac_f64_e32 v[32:33], v[32:33], v[34:35]
	v_div_scale_f64 v[34:35], vcc_lo, s[26:27], v[2:3], s[26:27]
	v_mul_f64_e32 v[36:37], v[34:35], v[32:33]
	s_delay_alu instid0(VALU_DEP_1) | instskip(NEXT) | instid1(VALU_DEP_1)
	v_fma_f64 v[4:5], -v[4:5], v[36:37], v[34:35]
	v_div_fmas_f64 v[4:5], v[4:5], v[32:33], v[36:37]
	s_delay_alu instid0(VALU_DEP_1)
	v_div_fixup_f64 v[2:3], v[4:5], v[2:3], s[26:27]
	ds_load_2addr_b32 v[4:5], v9 offset0:7 offset1:10
	s_and_saveexec_b32 s2, s0
	s_cbranch_execz .LBB21_76
; %bb.75:                               ;   in Loop: Header=BB21_20 Depth=2
	s_wait_dscnt 0x0
	global_load_b64 v[32:33], v5, s[64:65] scale_offset
	s_wait_loadcnt 0x0
	v_mul_f64_e32 v[32:33], v[2:3], v[32:33]
	global_store_b64 v5, v[32:33], s[64:65] scale_offset
.LBB21_76:                              ;   in Loop: Header=BB21_20 Depth=2
	s_wait_xcnt 0x0
	s_or_b32 exec_lo, exec_lo, s2
	s_wait_dscnt 0x0
	v_add_nc_u32_e32 v32, v4, v0
	s_mov_b32 s2, exec_lo
	s_delay_alu instid0(VALU_DEP_1)
	v_cmpx_lt_i32_e64 v32, v5
	s_cbranch_execz .LBB21_17
; %bb.77:                               ;   in Loop: Header=BB21_20 Depth=2
	v_ashrrev_i32_e32 v33, 31, v32
	s_mov_b32 s3, 0
	s_delay_alu instid0(VALU_DEP_1)
	v_lshl_add_u64 v[34:35], v[32:33], 3, s[62:63]
.LBB21_78:                              ;   Parent Loop BB21_7 Depth=1
                                        ;     Parent Loop BB21_20 Depth=2
                                        ; =>    This Inner Loop Header: Depth=3
	s_delay_alu instid0(VALU_DEP_1)
	v_add_nc_u64_e32 v[36:37], s[12:13], v[34:35]
	v_add_nc_u64_e32 v[40:41], s[16:17], v[34:35]
	;; [unrolled: 1-line block ×3, first 2 shown]
	v_add_nc_u32_e32 v32, s33, v32
	global_load_b64 v[38:39], v[36:37], off
	v_cmp_ge_i32_e32 vcc_lo, v32, v5
	s_or_b32 s3, vcc_lo, s3
	s_wait_loadcnt 0x0
	v_mul_f64_e32 v[38:39], v[2:3], v[38:39]
	global_store_b64 v[36:37], v[38:39], off
	global_load_b64 v[36:37], v[40:41], off
	s_wait_loadcnt 0x0
	v_mul_f64_e32 v[36:37], v[2:3], v[36:37]
	global_store_b64 v[40:41], v[36:37], off
	s_wait_xcnt 0x0
	s_and_not1_b32 exec_lo, exec_lo, s3
	s_cbranch_execnz .LBB21_78
	s_branch .LBB21_17
.LBB21_79:                              ;   in Loop: Header=BB21_81 Depth=3
	s_or_b32 exec_lo, exec_lo, s21
	s_wait_storecnt 0x0
	s_barrier_signal -1
	s_barrier_wait -1
	ds_load_b32 v32, v9 offset:16
.LBB21_80:                              ;   in Loop: Header=BB21_81 Depth=3
	ds_load_b64 v[34:35], v9 offset:32
	s_wait_dscnt 0x0
	v_cmp_ge_i32_e32 vcc_lo, v32, v34
	v_cmp_gt_i32_e64 s2, s15, v35
	s_and_b32 s2, vcc_lo, s2
.LBB21_81:                              ;   Parent Loop BB21_7 Depth=1
                                        ;     Parent Loop BB21_20 Depth=2
                                        ; =>    This Loop Header: Depth=3
                                        ;         Child Loop BB21_88 Depth 4
                                        ;         Child Loop BB21_108 Depth 4
	;; [unrolled: 1-line block ×3, first 2 shown]
                                        ;           Child Loop BB21_160 Depth 5
	s_delay_alu instid0(SALU_CYCLE_1)
	s_and_not1_b32 vcc_lo, exec_lo, s2
	s_cbranch_vccnz .LBB21_66
; %bb.82:                               ;   in Loop: Header=BB21_81 Depth=3
	s_and_saveexec_b32 s21, s0
	s_cbranch_execz .LBB21_155
; %bb.83:                               ;   in Loop: Header=BB21_81 Depth=3
	v_cmp_gt_i32_e32 vcc_lo, v32, v34
	s_mov_b32 s2, 0
	s_cbranch_vccnz .LBB21_85
; %bb.84:                               ;   in Loop: Header=BB21_81 Depth=3
	v_ashrrev_i32_e32 v33, 31, v32
	s_mov_b32 s3, -1
	s_delay_alu instid0(VALU_DEP_1)
	v_mov_b64_e32 v[40:41], v[32:33]
	v_mov_b32_e32 v36, v32
	s_cbranch_execz .LBB21_86
	s_branch .LBB21_91
.LBB21_85:                              ;   in Loop: Header=BB21_81 Depth=3
	s_mov_b32 s3, 0
                                        ; implicit-def: $vgpr40_vgpr41
	v_mov_b32_e32 v36, v32
.LBB21_86:                              ;   in Loop: Header=BB21_81 Depth=3
	v_dual_mov_b32 v4, v32 :: v_dual_ashrrev_i32 v33, 31, v32
	s_delay_alu instid0(VALU_DEP_1) | instskip(NEXT) | instid1(VALU_DEP_1)
	v_lshlrev_b64_e32 v[2:3], 3, v[32:33]
	v_add_nc_u64_e32 v[16:17], s[66:67], v[2:3]
	v_add_nc_u64_e32 v[2:3], s[86:87], v[2:3]
	s_branch .LBB21_88
.LBB21_87:                              ;   in Loop: Header=BB21_88 Depth=4
	v_add_nc_u32_e32 v4, -1, v64
	v_add_nc_u64_e32 v[2:3], -8, v[2:3]
	s_mov_b32 s2, 0
	s_delay_alu instid0(VALU_DEP_2)
	v_cmp_le_i32_e64 s3, v4, v34
	v_add_nc_u64_e32 v[16:17], -8, v[16:17]
	s_and_not1_b32 vcc_lo, exec_lo, s3
	s_cbranch_vccz .LBB21_90
.LBB21_88:                              ;   Parent Loop BB21_7 Depth=1
                                        ;     Parent Loop BB21_20 Depth=2
                                        ;       Parent Loop BB21_81 Depth=3
                                        ; =>      This Inner Loop Header: Depth=4
	global_load_b128 v[36:39], v[2:3], off
	global_load_b64 v[22:23], v[16:17], off offset:-8
	s_wait_loadcnt 0x1
	v_dual_mul_f64 v[36:37], v[38:39], v[36:37] :: v_dual_mov_b32 v64, v4
	s_wait_loadcnt 0x0
	v_mul_f64_e32 v[22:23], v[22:23], v[22:23]
	s_delay_alu instid0(VALU_DEP_2) | instskip(NEXT) | instid1(VALU_DEP_1)
	v_mul_f64_e64 v[36:37], v[6:7], |v[36:37]|
	v_cmp_le_f64_e64 s2, |v[22:23]|, v[36:37]
	s_and_b32 vcc_lo, exec_lo, s2
	s_cbranch_vccz .LBB21_87
; %bb.89:                               ;   in Loop: Header=BB21_81 Depth=3
	s_mov_b32 s2, -1
                                        ; implicit-def: $vgpr4
                                        ; implicit-def: $vgpr2_vgpr3
	v_add_nc_u64_e32 v[16:17], -8, v[16:17]
.LBB21_90:                              ;   in Loop: Header=BB21_81 Depth=3
	v_mov_b64_e32 v[22:23], v[32:33]
	v_mov_b64_e32 v[40:41], v[32:33]
	v_mov_b32_e32 v36, v34
	s_xor_b32 s3, s2, -1
	s_mov_b32 s2, -1
.LBB21_91:                              ;   in Loop: Header=BB21_81 Depth=3
	s_and_b32 vcc_lo, exec_lo, s3
	s_cbranch_vccnz .LBB21_120
; %bb.92:                               ;   in Loop: Header=BB21_81 Depth=3
	s_and_not1_b32 vcc_lo, exec_lo, s2
	s_cbranch_vccnz .LBB21_94
.LBB21_93:                              ;   in Loop: Header=BB21_81 Depth=3
	v_mov_b64_e32 v[40:41], v[22:23]
	v_mov_b32_e32 v36, v64
	ds_store_2addr_b32 v9, v64, v32 offset0:5 offset1:7
	global_store_b64 v[16:17], v[14:15], off
.LBB21_94:                              ;   in Loop: Header=BB21_81 Depth=3
	v_lshl_add_u64 v[38:39], v[40:41], 3, s[64:65]
	v_add_nc_u32_e32 v2, -1, v32
	s_mov_b32 s2, exec_lo
	global_load_b64 v[44:45], v[38:39], off
	s_wait_loadcnt 0x0
	ds_store_b64 v9, v[44:45]
	s_wait_xcnt 0x0
	v_cmpx_ne_u32_e64 v36, v32
	s_xor_b32 s30, exec_lo, s2
	s_cbranch_execz .LBB21_152
; %bb.95:                               ;   in Loop: Header=BB21_81 Depth=3
	s_mov_b32 s2, exec_lo
	v_cmpx_ne_u32_e64 v36, v2
	s_xor_b32 s57, exec_lo, s2
	s_cbranch_execz .LBB21_124
; %bb.96:                               ;   in Loop: Header=BB21_81 Depth=3
	v_lshl_add_u64 v[2:3], v[40:41], 3, s[66:67]
	s_mov_b32 s96, exec_lo
	global_load_b64 v[4:5], v[38:39], off offset:-8
	global_load_b64 v[40:41], v[2:3], off offset:-8
	global_load_b64 v[42:43], v36, s[64:65] scale_offset
	s_wait_loadcnt 0x2
	v_add_f64_e64 v[4:5], v[4:5], -v[44:45]
	s_wait_loadcnt 0x1
	v_add_f64_e32 v[46:47], v[40:41], v[40:41]
	s_delay_alu instid0(VALU_DEP_1) | instskip(SKIP_1) | instid1(VALU_DEP_2)
	v_div_scale_f64 v[48:49], null, v[46:47], v[46:47], v[4:5]
	v_div_scale_f64 v[54:55], vcc_lo, v[4:5], v[46:47], v[4:5]
	v_rcp_f64_e32 v[50:51], v[48:49]
	v_nop
	s_delay_alu instid0(TRANS32_DEP_1) | instskip(NEXT) | instid1(VALU_DEP_1)
	v_fma_f64 v[52:53], -v[48:49], v[50:51], 1.0
	v_fmac_f64_e32 v[50:51], v[50:51], v[52:53]
	s_delay_alu instid0(VALU_DEP_1) | instskip(NEXT) | instid1(VALU_DEP_1)
	v_fma_f64 v[52:53], -v[48:49], v[50:51], 1.0
	v_fmac_f64_e32 v[50:51], v[50:51], v[52:53]
	s_delay_alu instid0(VALU_DEP_1) | instskip(NEXT) | instid1(VALU_DEP_1)
	v_mul_f64_e32 v[52:53], v[54:55], v[50:51]
	v_fma_f64 v[48:49], -v[48:49], v[52:53], v[54:55]
	s_delay_alu instid0(VALU_DEP_1) | instskip(NEXT) | instid1(VALU_DEP_1)
	v_div_fmas_f64 v[48:49], v[48:49], v[50:51], v[52:53]
	v_div_fixup_f64 v[4:5], v[48:49], v[46:47], v[4:5]
	s_delay_alu instid0(VALU_DEP_1) | instskip(NEXT) | instid1(VALU_DEP_1)
	v_fma_f64 v[46:47], v[4:5], v[4:5], 1.0
	v_cmp_gt_f64_e32 vcc_lo, 0x10000000, v[46:47]
	v_cndmask_b32_e64 v8, 0, 0x100, vcc_lo
	s_delay_alu instid0(VALU_DEP_1) | instskip(SKIP_1) | instid1(VALU_DEP_2)
	v_ldexp_f64 v[46:47], v[46:47], v8
	v_cndmask_b32_e64 v8, 0, 0xffffff80, vcc_lo
	v_rsq_f64_e32 v[48:49], v[46:47]
	v_cmp_class_f64_e64 vcc_lo, v[46:47], 0x260
	s_delay_alu instid0(TRANS32_DEP_1) | instskip(SKIP_1) | instid1(VALU_DEP_1)
	v_mul_f64_e32 v[50:51], v[46:47], v[48:49]
	v_mul_f64_e32 v[48:49], 0.5, v[48:49]
	v_fma_f64 v[52:53], -v[48:49], v[50:51], 0.5
	s_delay_alu instid0(VALU_DEP_1) | instskip(SKIP_1) | instid1(VALU_DEP_2)
	v_fmac_f64_e32 v[50:51], v[50:51], v[52:53]
	v_fmac_f64_e32 v[48:49], v[48:49], v[52:53]
	v_fma_f64 v[52:53], -v[50:51], v[50:51], v[46:47]
	s_delay_alu instid0(VALU_DEP_1) | instskip(NEXT) | instid1(VALU_DEP_1)
	v_fmac_f64_e32 v[50:51], v[52:53], v[48:49]
	v_fma_f64 v[52:53], -v[50:51], v[50:51], v[46:47]
	s_delay_alu instid0(VALU_DEP_1) | instskip(NEXT) | instid1(VALU_DEP_1)
	v_fmac_f64_e32 v[50:51], v[52:53], v[48:49]
	v_ldexp_f64 v[48:49], v[50:51], v8
	s_delay_alu instid0(VALU_DEP_1) | instskip(SKIP_1) | instid1(VALU_DEP_2)
	v_dual_cndmask_b32 v8, v49, v47, vcc_lo :: v_dual_cndmask_b32 v46, v48, v46, vcc_lo
	v_cmp_nle_f64_e32 vcc_lo, 0, v[4:5]
	v_and_b32_e32 v33, 0x7fffffff, v8
	v_or_b32_e32 v8, 0x80000000, v8
	s_delay_alu instid0(VALU_DEP_1) | instskip(SKIP_3) | instid1(VALU_DEP_1)
	v_dual_cndmask_b32 v47, v33, v8 :: v_dual_add_nc_u32 v8, 1, v35
	ds_store_b32 v9, v8 offset:36
	ds_store_b64 v9, v[14:15]
	v_add_f64_e32 v[4:5], v[4:5], v[46:47]
	v_div_scale_f64 v[46:47], null, v[4:5], v[4:5], v[40:41]
	s_delay_alu instid0(VALU_DEP_1) | instskip(SKIP_1) | instid1(TRANS32_DEP_1)
	v_rcp_f64_e32 v[48:49], v[46:47]
	v_nop
	v_fma_f64 v[50:51], -v[46:47], v[48:49], 1.0
	s_delay_alu instid0(VALU_DEP_1) | instskip(NEXT) | instid1(VALU_DEP_1)
	v_fmac_f64_e32 v[48:49], v[48:49], v[50:51]
	v_fma_f64 v[50:51], -v[46:47], v[48:49], 1.0
	s_delay_alu instid0(VALU_DEP_1) | instskip(SKIP_1) | instid1(VALU_DEP_1)
	v_fmac_f64_e32 v[48:49], v[48:49], v[50:51]
	v_div_scale_f64 v[50:51], vcc_lo, v[40:41], v[4:5], v[40:41]
	v_mul_f64_e32 v[52:53], v[50:51], v[48:49]
	s_delay_alu instid0(VALU_DEP_1) | instskip(NEXT) | instid1(VALU_DEP_1)
	v_fma_f64 v[46:47], -v[46:47], v[52:53], v[50:51]
	v_div_fmas_f64 v[46:47], v[46:47], v[48:49], v[52:53]
	s_wait_loadcnt 0x0
	v_add_f64_e64 v[48:49], v[42:43], -v[44:45]
	s_delay_alu instid0(VALU_DEP_2) | instskip(SKIP_1) | instid1(VALU_DEP_2)
	v_div_fixup_f64 v[4:5], v[46:47], v[4:5], v[40:41]
	v_mov_b64_e32 v[40:41], 0
	v_add_f64_e32 v[4:5], v[48:49], v[4:5]
	s_wait_xcnt 0x0
	v_cmpx_lt_i32_e64 v36, v32
	s_cbranch_execz .LBB21_123
; %bb.97:                               ;   in Loop: Header=BB21_81 Depth=3
	v_ashrrev_i32_e32 v37, 31, v36
	v_mov_b64_e32 v[52:53], 0
	s_mov_b32 s2, exec_lo
	s_delay_alu instid0(VALU_DEP_2)
	v_lshl_add_u64 v[34:35], v[36:37], 3, s[66:67]
	global_load_b64 v[44:45], v[34:35], off
	s_wait_xcnt 0x0
	v_mov_b64_e32 v[34:35], 1.0
	s_wait_loadcnt 0x0
	v_cmpx_neq_f64_e32 0, v[44:45]
	s_cbranch_execz .LBB21_105
; %bb.98:                               ;   in Loop: Header=BB21_81 Depth=3
	v_mov_b64_e32 v[34:35], 0
	v_mov_b64_e32 v[52:53], 1.0
	s_mov_b32 s3, exec_lo
	v_cmpx_neq_f64_e32 0, v[4:5]
	s_cbranch_execz .LBB21_104
; %bb.99:                               ;   in Loop: Header=BB21_81 Depth=3
	v_cmp_ngt_f64_e64 s90, |v[44:45]|, |v[4:5]|
                                        ; implicit-def: $vgpr52_vgpr53
                                        ; implicit-def: $vgpr34_vgpr35
	s_and_saveexec_b32 s91, s90
	s_delay_alu instid0(SALU_CYCLE_1)
	s_xor_b32 s90, exec_lo, s91
	s_cbranch_execz .LBB21_101
; %bb.100:                              ;   in Loop: Header=BB21_81 Depth=3
	v_div_scale_f64 v[34:35], null, v[4:5], v[4:5], -v[44:45]
	v_div_scale_f64 v[48:49], vcc_lo, -v[44:45], v[4:5], -v[44:45]
	s_delay_alu instid0(VALU_DEP_2) | instskip(SKIP_1) | instid1(TRANS32_DEP_1)
	v_rcp_f64_e32 v[40:41], v[34:35]
	v_nop
	v_fma_f64 v[46:47], -v[34:35], v[40:41], 1.0
	s_delay_alu instid0(VALU_DEP_1) | instskip(NEXT) | instid1(VALU_DEP_1)
	v_fmac_f64_e32 v[40:41], v[40:41], v[46:47]
	v_fma_f64 v[46:47], -v[34:35], v[40:41], 1.0
	s_delay_alu instid0(VALU_DEP_1) | instskip(NEXT) | instid1(VALU_DEP_1)
	v_fmac_f64_e32 v[40:41], v[40:41], v[46:47]
	v_mul_f64_e32 v[46:47], v[48:49], v[40:41]
	s_delay_alu instid0(VALU_DEP_1) | instskip(NEXT) | instid1(VALU_DEP_1)
	v_fma_f64 v[34:35], -v[34:35], v[46:47], v[48:49]
	v_div_fmas_f64 v[34:35], v[34:35], v[40:41], v[46:47]
	s_delay_alu instid0(VALU_DEP_1) | instskip(NEXT) | instid1(VALU_DEP_1)
	v_div_fixup_f64 v[4:5], v[34:35], v[4:5], -v[44:45]
	v_fma_f64 v[34:35], v[4:5], v[4:5], 1.0
	s_delay_alu instid0(VALU_DEP_1) | instskip(SKIP_1) | instid1(VALU_DEP_1)
	v_cmp_gt_f64_e32 vcc_lo, 0x10000000, v[34:35]
	v_cndmask_b32_e64 v8, 0, 0x100, vcc_lo
	v_ldexp_f64 v[34:35], v[34:35], v8
	v_cndmask_b32_e64 v8, 0, 0xffffff80, vcc_lo
	s_delay_alu instid0(VALU_DEP_2) | instskip(SKIP_1) | instid1(TRANS32_DEP_1)
	v_rsq_f64_e32 v[40:41], v[34:35]
	v_cmp_class_f64_e64 vcc_lo, v[34:35], 0x260
	v_mul_f64_e32 v[46:47], v[34:35], v[40:41]
	v_mul_f64_e32 v[40:41], 0.5, v[40:41]
	s_delay_alu instid0(VALU_DEP_1) | instskip(NEXT) | instid1(VALU_DEP_1)
	v_fma_f64 v[48:49], -v[40:41], v[46:47], 0.5
	v_fmac_f64_e32 v[46:47], v[46:47], v[48:49]
	v_fmac_f64_e32 v[40:41], v[40:41], v[48:49]
	s_delay_alu instid0(VALU_DEP_2) | instskip(NEXT) | instid1(VALU_DEP_1)
	v_fma_f64 v[48:49], -v[46:47], v[46:47], v[34:35]
	v_fmac_f64_e32 v[46:47], v[48:49], v[40:41]
	s_delay_alu instid0(VALU_DEP_1) | instskip(NEXT) | instid1(VALU_DEP_1)
	v_fma_f64 v[48:49], -v[46:47], v[46:47], v[34:35]
	v_fmac_f64_e32 v[46:47], v[48:49], v[40:41]
	s_delay_alu instid0(VALU_DEP_1) | instskip(NEXT) | instid1(VALU_DEP_1)
	v_ldexp_f64 v[40:41], v[46:47], v8
	v_dual_cndmask_b32 v35, v41, v35 :: v_dual_cndmask_b32 v34, v40, v34
	s_delay_alu instid0(VALU_DEP_1) | instskip(NEXT) | instid1(VALU_DEP_1)
	v_div_scale_f64 v[40:41], null, v[34:35], v[34:35], 1.0
	v_rcp_f64_e32 v[46:47], v[40:41]
	v_nop
	s_delay_alu instid0(TRANS32_DEP_1) | instskip(NEXT) | instid1(VALU_DEP_1)
	v_fma_f64 v[48:49], -v[40:41], v[46:47], 1.0
	v_fmac_f64_e32 v[46:47], v[46:47], v[48:49]
	s_delay_alu instid0(VALU_DEP_1) | instskip(NEXT) | instid1(VALU_DEP_1)
	v_fma_f64 v[48:49], -v[40:41], v[46:47], 1.0
	v_fmac_f64_e32 v[46:47], v[46:47], v[48:49]
	v_div_scale_f64 v[48:49], vcc_lo, 1.0, v[34:35], 1.0
	s_delay_alu instid0(VALU_DEP_1) | instskip(NEXT) | instid1(VALU_DEP_1)
	v_mul_f64_e32 v[50:51], v[48:49], v[46:47]
	v_fma_f64 v[40:41], -v[40:41], v[50:51], v[48:49]
	s_delay_alu instid0(VALU_DEP_1) | instskip(NEXT) | instid1(VALU_DEP_1)
	v_div_fmas_f64 v[40:41], v[40:41], v[46:47], v[50:51]
	v_div_fixup_f64 v[34:35], v[40:41], v[34:35], 1.0
	s_delay_alu instid0(VALU_DEP_1)
	v_mul_f64_e32 v[52:53], v[4:5], v[34:35]
                                        ; implicit-def: $vgpr4_vgpr5
.LBB21_101:                             ;   in Loop: Header=BB21_81 Depth=3
	s_and_not1_saveexec_b32 s90, s90
	s_cbranch_execz .LBB21_103
; %bb.102:                              ;   in Loop: Header=BB21_81 Depth=3
	v_div_scale_f64 v[34:35], null, v[44:45], v[44:45], -v[4:5]
	v_div_scale_f64 v[48:49], vcc_lo, -v[4:5], v[44:45], -v[4:5]
	s_delay_alu instid0(VALU_DEP_2) | instskip(SKIP_1) | instid1(TRANS32_DEP_1)
	v_rcp_f64_e32 v[40:41], v[34:35]
	v_nop
	v_fma_f64 v[46:47], -v[34:35], v[40:41], 1.0
	s_delay_alu instid0(VALU_DEP_1) | instskip(NEXT) | instid1(VALU_DEP_1)
	v_fmac_f64_e32 v[40:41], v[40:41], v[46:47]
	v_fma_f64 v[46:47], -v[34:35], v[40:41], 1.0
	s_delay_alu instid0(VALU_DEP_1) | instskip(NEXT) | instid1(VALU_DEP_1)
	v_fmac_f64_e32 v[40:41], v[40:41], v[46:47]
	v_mul_f64_e32 v[46:47], v[48:49], v[40:41]
	s_delay_alu instid0(VALU_DEP_1) | instskip(NEXT) | instid1(VALU_DEP_1)
	v_fma_f64 v[34:35], -v[34:35], v[46:47], v[48:49]
	v_div_fmas_f64 v[34:35], v[34:35], v[40:41], v[46:47]
	s_delay_alu instid0(VALU_DEP_1) | instskip(NEXT) | instid1(VALU_DEP_1)
	v_div_fixup_f64 v[4:5], v[34:35], v[44:45], -v[4:5]
	v_fma_f64 v[34:35], v[4:5], v[4:5], 1.0
	s_delay_alu instid0(VALU_DEP_1) | instskip(SKIP_1) | instid1(VALU_DEP_1)
	v_cmp_gt_f64_e32 vcc_lo, 0x10000000, v[34:35]
	v_cndmask_b32_e64 v8, 0, 0x100, vcc_lo
	v_ldexp_f64 v[34:35], v[34:35], v8
	v_cndmask_b32_e64 v8, 0, 0xffffff80, vcc_lo
	s_delay_alu instid0(VALU_DEP_2) | instskip(SKIP_1) | instid1(TRANS32_DEP_1)
	v_rsq_f64_e32 v[40:41], v[34:35]
	v_cmp_class_f64_e64 vcc_lo, v[34:35], 0x260
	v_mul_f64_e32 v[46:47], v[34:35], v[40:41]
	v_mul_f64_e32 v[40:41], 0.5, v[40:41]
	s_delay_alu instid0(VALU_DEP_1) | instskip(NEXT) | instid1(VALU_DEP_1)
	v_fma_f64 v[48:49], -v[40:41], v[46:47], 0.5
	v_fmac_f64_e32 v[46:47], v[46:47], v[48:49]
	v_fmac_f64_e32 v[40:41], v[40:41], v[48:49]
	s_delay_alu instid0(VALU_DEP_2) | instskip(NEXT) | instid1(VALU_DEP_1)
	v_fma_f64 v[48:49], -v[46:47], v[46:47], v[34:35]
	v_fmac_f64_e32 v[46:47], v[48:49], v[40:41]
	s_delay_alu instid0(VALU_DEP_1) | instskip(NEXT) | instid1(VALU_DEP_1)
	v_fma_f64 v[48:49], -v[46:47], v[46:47], v[34:35]
	v_fmac_f64_e32 v[46:47], v[48:49], v[40:41]
	s_delay_alu instid0(VALU_DEP_1) | instskip(NEXT) | instid1(VALU_DEP_1)
	v_ldexp_f64 v[40:41], v[46:47], v8
	v_dual_cndmask_b32 v35, v41, v35 :: v_dual_cndmask_b32 v34, v40, v34
	s_delay_alu instid0(VALU_DEP_1) | instskip(NEXT) | instid1(VALU_DEP_1)
	v_div_scale_f64 v[40:41], null, v[34:35], v[34:35], 1.0
	v_rcp_f64_e32 v[46:47], v[40:41]
	v_nop
	s_delay_alu instid0(TRANS32_DEP_1) | instskip(NEXT) | instid1(VALU_DEP_1)
	v_fma_f64 v[48:49], -v[40:41], v[46:47], 1.0
	v_fmac_f64_e32 v[46:47], v[46:47], v[48:49]
	s_delay_alu instid0(VALU_DEP_1) | instskip(NEXT) | instid1(VALU_DEP_1)
	v_fma_f64 v[48:49], -v[40:41], v[46:47], 1.0
	v_fmac_f64_e32 v[46:47], v[46:47], v[48:49]
	v_div_scale_f64 v[48:49], vcc_lo, 1.0, v[34:35], 1.0
	s_delay_alu instid0(VALU_DEP_1) | instskip(NEXT) | instid1(VALU_DEP_1)
	v_mul_f64_e32 v[50:51], v[48:49], v[46:47]
	v_fma_f64 v[40:41], -v[40:41], v[50:51], v[48:49]
	s_delay_alu instid0(VALU_DEP_1) | instskip(NEXT) | instid1(VALU_DEP_1)
	v_div_fmas_f64 v[40:41], v[40:41], v[46:47], v[50:51]
	v_div_fixup_f64 v[52:53], v[40:41], v[34:35], 1.0
	s_delay_alu instid0(VALU_DEP_1)
	v_mul_f64_e32 v[34:35], v[4:5], v[52:53]
.LBB21_103:                             ;   in Loop: Header=BB21_81 Depth=3
	s_or_b32 exec_lo, exec_lo, s90
.LBB21_104:                             ;   in Loop: Header=BB21_81 Depth=3
	s_delay_alu instid0(SALU_CYCLE_1)
	s_or_b32 exec_lo, exec_lo, s3
.LBB21_105:                             ;   in Loop: Header=BB21_81 Depth=3
	s_delay_alu instid0(SALU_CYCLE_1) | instskip(SKIP_1) | instid1(VALU_DEP_2)
	s_or_b32 exec_lo, exec_lo, s2
	v_lshl_add_u64 v[46:47], v[36:37], 3, s[64:65]
	v_add_f64_e32 v[40:41], v[34:35], v[34:35]
	s_mov_b32 s97, exec_lo
	global_load_b64 v[4:5], v[46:47], off offset:8
	s_wait_loadcnt 0x0
	v_add_f64_e64 v[4:5], v[4:5], -v[42:43]
	s_delay_alu instid0(VALU_DEP_1) | instskip(NEXT) | instid1(VALU_DEP_1)
	v_mul_f64_e32 v[4:5], v[52:53], v[4:5]
	v_fma_f64 v[4:5], v[44:45], v[40:41], -v[4:5]
	s_delay_alu instid0(VALU_DEP_1)
	v_mul_f64_e64 v[40:41], v[4:5], -v[52:53]
	v_fma_f64 v[48:49], v[4:5], -v[52:53], v[42:43]
	v_fma_f64 v[4:5], v[34:35], v[4:5], -v[44:45]
	v_lshl_add_u64 v[44:45], v[36:37], 3, s[70:71]
	v_add_nc_u32_e32 v42, 1, v36
	v_xor_b32_e32 v53, 0x80000000, v53
	s_delay_alu instid0(VALU_DEP_3)
	v_lshl_add_u64 v[50:51], s[60:61], 3, v[44:45]
	ds_store_b64 v9, v[40:41]
	global_store_b64 v[46:47], v[48:49], off
	s_clause 0x1
	global_store_b64 v[44:45], v[34:35], off
	global_store_b64 v[50:51], v[52:53], off offset:-8
	s_wait_xcnt 0x0
	v_cmpx_lt_i32_e64 v42, v32
	s_cbranch_execz .LBB21_122
; %bb.106:                              ;   in Loop: Header=BB21_81 Depth=3
	v_ashrrev_i32_e32 v43, 31, v42
	s_mov_b32 s99, 1
	s_mov_b32 s98, 0
	s_mov_b64 s[2:3], s[64:65]
	s_mov_b64 s[90:91], s[88:89]
	v_lshlrev_b64_e32 v[42:43], 3, v[42:43]
	s_mov_b64 s[92:93], s[80:81]
	s_mov_b64 s[94:95], s[70:71]
	s_branch .LBB21_108
.LBB21_107:                             ;   in Loop: Header=BB21_108 Depth=4
	v_add_nc_u64_e32 v[54:55], s[2:3], v[42:43]
	v_mul_f64_e32 v[34:35], v[34:35], v[44:45]
	s_add_co_i32 s99, s99, 1
	s_delay_alu instid0(SALU_CYCLE_1)
	v_dual_add_f64 v[44:45], v[50:51], v[50:51] :: v_dual_add_nc_u32 v8, s99, v36
	s_add_nc_u64 s[92:93], s[92:93], 8
	s_add_nc_u64 s[2:3], s[2:3], 8
	global_load_b128 v[46:49], v[54:55], off
	v_cmp_ge_i32_e32 vcc_lo, v8, v32
	s_or_b32 s98, vcc_lo, s98
	s_wait_loadcnt 0x0
	v_add_f64_e64 v[4:5], v[46:47], -v[40:41]
	s_delay_alu instid0(VALU_DEP_1) | instskip(SKIP_2) | instid1(VALU_DEP_2)
	v_add_f64_e64 v[40:41], v[48:49], -v[4:5]
	v_add_nc_u64_e32 v[48:49], s[90:91], v[42:43]
	s_add_nc_u64 s[90:91], s[90:91], 8
	v_mul_f64_e32 v[40:41], v[52:53], v[40:41]
	s_delay_alu instid0(VALU_DEP_1) | instskip(NEXT) | instid1(VALU_DEP_1)
	v_fma_f64 v[44:45], v[34:35], v[44:45], -v[40:41]
	v_fma_f64 v[46:47], v[44:45], -v[52:53], v[4:5]
	v_mul_f64_e64 v[40:41], v[44:45], -v[52:53]
	v_fma_f64 v[4:5], v[50:51], v[44:45], -v[34:35]
	v_mov_b64_e32 v[34:35], v[50:51]
	v_add_nc_u64_e32 v[44:45], s[94:95], v[42:43]
	v_xor_b32_e32 v53, 0x80000000, v53
	s_add_nc_u64 s[94:95], s[94:95], 8
	global_store_b64 v[54:55], v[46:47], off
	global_store_b64 v[44:45], v[50:51], off
	;; [unrolled: 1-line block ×3, first 2 shown]
	s_wait_xcnt 0x0
	s_and_not1_b32 exec_lo, exec_lo, s98
	s_cbranch_execz .LBB21_121
.LBB21_108:                             ;   Parent Loop BB21_7 Depth=1
                                        ;     Parent Loop BB21_20 Depth=2
                                        ;       Parent Loop BB21_81 Depth=3
                                        ; =>      This Inner Loop Header: Depth=4
	s_delay_alu instid0(VALU_DEP_1)
	v_add_nc_u64_e32 v[46:47], s[92:93], v[42:43]
	v_mov_b64_e32 v[50:51], 1.0
	s_mov_b32 s100, exec_lo
	global_load_b64 v[44:45], v[46:47], off offset:8
	s_wait_loadcnt 0x0
	v_mul_f64_e32 v[48:49], v[52:53], v[44:45]
	v_mov_b64_e32 v[52:53], 0
	s_wait_xcnt 0x0
	s_delay_alu instid0(VALU_DEP_2)
	v_cmpx_neq_f64_e32 0, v[48:49]
	s_cbranch_execz .LBB21_118
; %bb.109:                              ;   in Loop: Header=BB21_108 Depth=4
	v_xor_b32_e32 v55, 0x80000000, v49
	v_mov_b32_e32 v54, v48
	s_mov_b32 s101, exec_lo
                                        ; implicit-def: $vgpr52_vgpr53
                                        ; implicit-def: $vgpr50_vgpr51
	v_cmpx_neq_f64_e32 0, v[4:5]
	s_xor_b32 s101, exec_lo, s101
	s_cbranch_execz .LBB21_115
; %bb.110:                              ;   in Loop: Header=BB21_108 Depth=4
	v_cmp_ngt_f64_e64 s102, |v[48:49]|, |v[4:5]|
                                        ; implicit-def: $vgpr52_vgpr53
                                        ; implicit-def: $vgpr50_vgpr51
	s_and_saveexec_b32 s103, s102
	s_delay_alu instid0(SALU_CYCLE_1)
	s_xor_b32 s102, exec_lo, s103
	s_cbranch_execz .LBB21_112
; %bb.111:                              ;   in Loop: Header=BB21_108 Depth=4
	v_div_scale_f64 v[50:51], null, v[4:5], v[4:5], -v[48:49]
	v_div_scale_f64 v[56:57], vcc_lo, -v[48:49], v[4:5], -v[48:49]
	s_delay_alu instid0(VALU_DEP_2) | instskip(SKIP_1) | instid1(TRANS32_DEP_1)
	v_rcp_f64_e32 v[52:53], v[50:51]
	v_nop
	v_fma_f64 v[54:55], -v[50:51], v[52:53], 1.0
	s_delay_alu instid0(VALU_DEP_1) | instskip(NEXT) | instid1(VALU_DEP_1)
	v_fmac_f64_e32 v[52:53], v[52:53], v[54:55]
	v_fma_f64 v[54:55], -v[50:51], v[52:53], 1.0
	s_delay_alu instid0(VALU_DEP_1) | instskip(NEXT) | instid1(VALU_DEP_1)
	v_fmac_f64_e32 v[52:53], v[52:53], v[54:55]
	v_mul_f64_e32 v[54:55], v[56:57], v[52:53]
	s_delay_alu instid0(VALU_DEP_1) | instskip(NEXT) | instid1(VALU_DEP_1)
	v_fma_f64 v[50:51], -v[50:51], v[54:55], v[56:57]
	v_div_fmas_f64 v[50:51], v[50:51], v[52:53], v[54:55]
	s_delay_alu instid0(VALU_DEP_1) | instskip(NEXT) | instid1(VALU_DEP_1)
	v_div_fixup_f64 v[52:53], v[50:51], v[4:5], -v[48:49]
	v_fma_f64 v[50:51], v[52:53], v[52:53], 1.0
	s_delay_alu instid0(VALU_DEP_1) | instskip(SKIP_1) | instid1(VALU_DEP_1)
	v_cmp_gt_f64_e32 vcc_lo, 0x10000000, v[50:51]
	v_cndmask_b32_e64 v8, 0, 0x100, vcc_lo
	v_ldexp_f64 v[50:51], v[50:51], v8
	v_cndmask_b32_e64 v8, 0, 0xffffff80, vcc_lo
	s_delay_alu instid0(VALU_DEP_2) | instskip(SKIP_1) | instid1(TRANS32_DEP_1)
	v_rsq_f64_e32 v[54:55], v[50:51]
	v_cmp_class_f64_e64 vcc_lo, v[50:51], 0x260
	v_mul_f64_e32 v[56:57], v[50:51], v[54:55]
	v_mul_f64_e32 v[54:55], 0.5, v[54:55]
	s_delay_alu instid0(VALU_DEP_1) | instskip(NEXT) | instid1(VALU_DEP_1)
	v_fma_f64 v[58:59], -v[54:55], v[56:57], 0.5
	v_fmac_f64_e32 v[56:57], v[56:57], v[58:59]
	v_fmac_f64_e32 v[54:55], v[54:55], v[58:59]
	s_delay_alu instid0(VALU_DEP_2) | instskip(NEXT) | instid1(VALU_DEP_1)
	v_fma_f64 v[58:59], -v[56:57], v[56:57], v[50:51]
	v_fmac_f64_e32 v[56:57], v[58:59], v[54:55]
	s_delay_alu instid0(VALU_DEP_1) | instskip(NEXT) | instid1(VALU_DEP_1)
	v_fma_f64 v[58:59], -v[56:57], v[56:57], v[50:51]
	v_fmac_f64_e32 v[56:57], v[58:59], v[54:55]
	s_delay_alu instid0(VALU_DEP_1) | instskip(NEXT) | instid1(VALU_DEP_1)
	v_ldexp_f64 v[54:55], v[56:57], v8
	v_dual_cndmask_b32 v51, v55, v51 :: v_dual_cndmask_b32 v50, v54, v50
	s_delay_alu instid0(VALU_DEP_1) | instskip(NEXT) | instid1(VALU_DEP_1)
	v_div_scale_f64 v[54:55], null, v[50:51], v[50:51], 1.0
	v_rcp_f64_e32 v[56:57], v[54:55]
	v_nop
	s_delay_alu instid0(TRANS32_DEP_1) | instskip(NEXT) | instid1(VALU_DEP_1)
	v_fma_f64 v[58:59], -v[54:55], v[56:57], 1.0
	v_fmac_f64_e32 v[56:57], v[56:57], v[58:59]
	s_delay_alu instid0(VALU_DEP_1) | instskip(NEXT) | instid1(VALU_DEP_1)
	v_fma_f64 v[58:59], -v[54:55], v[56:57], 1.0
	v_fmac_f64_e32 v[56:57], v[56:57], v[58:59]
	v_div_scale_f64 v[58:59], vcc_lo, 1.0, v[50:51], 1.0
	s_delay_alu instid0(VALU_DEP_1) | instskip(NEXT) | instid1(VALU_DEP_1)
	v_mul_f64_e32 v[60:61], v[58:59], v[56:57]
	v_fma_f64 v[54:55], -v[54:55], v[60:61], v[58:59]
	s_delay_alu instid0(VALU_DEP_1) | instskip(NEXT) | instid1(VALU_DEP_1)
	v_div_fmas_f64 v[54:55], v[54:55], v[56:57], v[60:61]
	v_div_fixup_f64 v[50:51], v[54:55], v[50:51], 1.0
	s_delay_alu instid0(VALU_DEP_1)
	v_mul_f64_e32 v[52:53], v[52:53], v[50:51]
.LBB21_112:                             ;   in Loop: Header=BB21_108 Depth=4
	s_and_not1_saveexec_b32 s102, s102
	s_cbranch_execz .LBB21_114
; %bb.113:                              ;   in Loop: Header=BB21_108 Depth=4
	v_div_scale_f64 v[50:51], null, v[48:49], v[48:49], -v[4:5]
	v_div_scale_f64 v[56:57], vcc_lo, -v[4:5], v[48:49], -v[4:5]
	s_delay_alu instid0(VALU_DEP_2) | instskip(SKIP_1) | instid1(TRANS32_DEP_1)
	v_rcp_f64_e32 v[52:53], v[50:51]
	v_nop
	v_fma_f64 v[54:55], -v[50:51], v[52:53], 1.0
	s_delay_alu instid0(VALU_DEP_1) | instskip(NEXT) | instid1(VALU_DEP_1)
	v_fmac_f64_e32 v[52:53], v[52:53], v[54:55]
	v_fma_f64 v[54:55], -v[50:51], v[52:53], 1.0
	s_delay_alu instid0(VALU_DEP_1) | instskip(NEXT) | instid1(VALU_DEP_1)
	v_fmac_f64_e32 v[52:53], v[52:53], v[54:55]
	v_mul_f64_e32 v[54:55], v[56:57], v[52:53]
	s_delay_alu instid0(VALU_DEP_1) | instskip(NEXT) | instid1(VALU_DEP_1)
	v_fma_f64 v[50:51], -v[50:51], v[54:55], v[56:57]
	v_div_fmas_f64 v[50:51], v[50:51], v[52:53], v[54:55]
	s_delay_alu instid0(VALU_DEP_1) | instskip(NEXT) | instid1(VALU_DEP_1)
	v_div_fixup_f64 v[50:51], v[50:51], v[48:49], -v[4:5]
	v_fma_f64 v[52:53], v[50:51], v[50:51], 1.0
	s_delay_alu instid0(VALU_DEP_1) | instskip(SKIP_1) | instid1(VALU_DEP_1)
	v_cmp_gt_f64_e32 vcc_lo, 0x10000000, v[52:53]
	v_cndmask_b32_e64 v8, 0, 0x100, vcc_lo
	v_ldexp_f64 v[52:53], v[52:53], v8
	v_cndmask_b32_e64 v8, 0, 0xffffff80, vcc_lo
	s_delay_alu instid0(VALU_DEP_2) | instskip(SKIP_1) | instid1(TRANS32_DEP_1)
	v_rsq_f64_e32 v[54:55], v[52:53]
	v_cmp_class_f64_e64 vcc_lo, v[52:53], 0x260
	v_mul_f64_e32 v[56:57], v[52:53], v[54:55]
	v_mul_f64_e32 v[54:55], 0.5, v[54:55]
	s_delay_alu instid0(VALU_DEP_1) | instskip(NEXT) | instid1(VALU_DEP_1)
	v_fma_f64 v[58:59], -v[54:55], v[56:57], 0.5
	v_fmac_f64_e32 v[56:57], v[56:57], v[58:59]
	v_fmac_f64_e32 v[54:55], v[54:55], v[58:59]
	s_delay_alu instid0(VALU_DEP_2) | instskip(NEXT) | instid1(VALU_DEP_1)
	v_fma_f64 v[58:59], -v[56:57], v[56:57], v[52:53]
	v_fmac_f64_e32 v[56:57], v[58:59], v[54:55]
	s_delay_alu instid0(VALU_DEP_1) | instskip(NEXT) | instid1(VALU_DEP_1)
	v_fma_f64 v[58:59], -v[56:57], v[56:57], v[52:53]
	v_fmac_f64_e32 v[56:57], v[58:59], v[54:55]
	s_delay_alu instid0(VALU_DEP_1) | instskip(NEXT) | instid1(VALU_DEP_1)
	v_ldexp_f64 v[54:55], v[56:57], v8
	v_dual_cndmask_b32 v53, v55, v53 :: v_dual_cndmask_b32 v52, v54, v52
	s_delay_alu instid0(VALU_DEP_1) | instskip(NEXT) | instid1(VALU_DEP_1)
	v_div_scale_f64 v[54:55], null, v[52:53], v[52:53], 1.0
	v_rcp_f64_e32 v[56:57], v[54:55]
	v_nop
	s_delay_alu instid0(TRANS32_DEP_1) | instskip(NEXT) | instid1(VALU_DEP_1)
	v_fma_f64 v[58:59], -v[54:55], v[56:57], 1.0
	v_fmac_f64_e32 v[56:57], v[56:57], v[58:59]
	s_delay_alu instid0(VALU_DEP_1) | instskip(NEXT) | instid1(VALU_DEP_1)
	v_fma_f64 v[58:59], -v[54:55], v[56:57], 1.0
	v_fmac_f64_e32 v[56:57], v[56:57], v[58:59]
	v_div_scale_f64 v[58:59], vcc_lo, 1.0, v[52:53], 1.0
	s_delay_alu instid0(VALU_DEP_1) | instskip(NEXT) | instid1(VALU_DEP_1)
	v_mul_f64_e32 v[60:61], v[58:59], v[56:57]
	v_fma_f64 v[54:55], -v[54:55], v[60:61], v[58:59]
	s_delay_alu instid0(VALU_DEP_1) | instskip(NEXT) | instid1(VALU_DEP_1)
	v_div_fmas_f64 v[54:55], v[54:55], v[56:57], v[60:61]
	v_div_fixup_f64 v[52:53], v[54:55], v[52:53], 1.0
	s_delay_alu instid0(VALU_DEP_1)
	v_mul_f64_e32 v[50:51], v[50:51], v[52:53]
.LBB21_114:                             ;   in Loop: Header=BB21_108 Depth=4
	s_or_b32 exec_lo, exec_lo, s102
	s_delay_alu instid0(VALU_DEP_1) | instskip(NEXT) | instid1(VALU_DEP_1)
	v_mul_f64_e32 v[48:49], v[48:49], v[52:53]
	v_fma_f64 v[54:55], v[4:5], v[50:51], -v[48:49]
.LBB21_115:                             ;   in Loop: Header=BB21_108 Depth=4
	s_and_not1_saveexec_b32 s101, s101
; %bb.116:                              ;   in Loop: Header=BB21_108 Depth=4
	v_mov_b64_e32 v[50:51], 0
	v_mov_b64_e32 v[52:53], 1.0
; %bb.117:                              ;   in Loop: Header=BB21_108 Depth=4
	s_or_b32 exec_lo, exec_lo, s101
	s_delay_alu instid0(VALU_DEP_3)
	v_mov_b64_e32 v[4:5], v[54:55]
.LBB21_118:                             ;   in Loop: Header=BB21_108 Depth=4
	s_or_b32 exec_lo, exec_lo, s100
	s_cmp_eq_u32 s99, 0
	s_cbranch_scc1 .LBB21_107
; %bb.119:                              ;   in Loop: Header=BB21_108 Depth=4
	global_store_b64 v[46:47], v[4:5], off
	s_branch .LBB21_107
.LBB21_120:                             ;   in Loop: Header=BB21_81 Depth=3
	ds_store_2addr_b32 v9, v36, v32 offset0:5 offset1:7
	s_cbranch_execz .LBB21_93
	s_branch .LBB21_94
.LBB21_121:                             ;   in Loop: Header=BB21_81 Depth=3
	s_or_b32 exec_lo, exec_lo, s98
	ds_store_b64 v9, v[40:41]
.LBB21_122:                             ;   in Loop: Header=BB21_81 Depth=3
	s_or_b32 exec_lo, exec_lo, s97
	global_load_b64 v[44:45], v[38:39], off
.LBB21_123:                             ;   in Loop: Header=BB21_81 Depth=3
	s_wait_xcnt 0x0
	s_or_b32 exec_lo, exec_lo, s96
	s_wait_loadcnt 0x0
	v_add_f64_e64 v[32:33], v[44:45], -v[40:41]
                                        ; implicit-def: $vgpr36
                                        ; implicit-def: $vgpr40_vgpr41
                                        ; implicit-def: $vgpr44_vgpr45
	global_store_b64 v[38:39], v[32:33], off
	global_store_b64 v[2:3], v[4:5], off offset:-8
                                        ; implicit-def: $vgpr38_vgpr39
                                        ; implicit-def: $vgpr32
.LBB21_124:                             ;   in Loop: Header=BB21_81 Depth=3
	s_wait_xcnt 0x0
	s_and_not1_saveexec_b32 s3, s57
	s_cbranch_execz .LBB21_161
; %bb.125:                              ;   in Loop: Header=BB21_81 Depth=3
	s_clause 0x1
	global_load_b64 v[2:3], v36, s[64:65] scale_offset
	global_load_b64 v[46:47], v36, s[66:67] scale_offset
                                        ; implicit-def: $vgpr48_vgpr49
	s_wait_loadcnt 0x1
	v_add_f64_e64 v[42:43], v[2:3], -v[44:45]
	s_wait_loadcnt 0x0
	v_add_f64_e32 v[34:35], v[46:47], v[46:47]
	s_delay_alu instid0(VALU_DEP_1) | instskip(SKIP_2) | instid1(SALU_CYCLE_1)
	v_cmp_ngt_f64_e64 s2, |v[42:43]|, |v[34:35]|
	s_wait_xcnt 0x0
	s_and_saveexec_b32 s57, s2
	s_xor_b32 s2, exec_lo, s57
	s_cbranch_execz .LBB21_131
; %bb.126:                              ;   in Loop: Header=BB21_81 Depth=3
	v_cmp_nlt_f64_e64 s57, |v[42:43]|, |v[34:35]|
                                        ; implicit-def: $vgpr48_vgpr49
	s_and_saveexec_b32 s90, s57
	s_delay_alu instid0(SALU_CYCLE_1)
	s_xor_b32 s57, exec_lo, s90
; %bb.127:                              ;   in Loop: Header=BB21_81 Depth=3
	v_mul_f64_e64 v[48:49], |v[34:35]|, s[44:45]
; %bb.128:                              ;   in Loop: Header=BB21_81 Depth=3
	s_and_not1_saveexec_b32 s57, s57
	s_cbranch_execz .LBB21_130
; %bb.129:                              ;   in Loop: Header=BB21_81 Depth=3
	v_and_b32_e32 v5, 0x7fffffff, v43
	v_dual_mov_b32 v4, v42 :: v_dual_mov_b32 v48, v34
	v_and_b32_e32 v49, 0x7fffffff, v35
	s_delay_alu instid0(VALU_DEP_1) | instskip(SKIP_1) | instid1(VALU_DEP_2)
	v_div_scale_f64 v[50:51], null, v[48:49], v[48:49], v[4:5]
	v_div_scale_f64 v[4:5], vcc_lo, v[4:5], v[48:49], v[4:5]
	v_rcp_f64_e32 v[52:53], v[50:51]
	v_nop
	s_delay_alu instid0(TRANS32_DEP_1) | instskip(NEXT) | instid1(VALU_DEP_1)
	v_fma_f64 v[54:55], -v[50:51], v[52:53], 1.0
	v_fmac_f64_e32 v[52:53], v[52:53], v[54:55]
	s_delay_alu instid0(VALU_DEP_1) | instskip(NEXT) | instid1(VALU_DEP_1)
	v_fma_f64 v[54:55], -v[50:51], v[52:53], 1.0
	v_fmac_f64_e32 v[52:53], v[52:53], v[54:55]
	s_delay_alu instid0(VALU_DEP_1) | instskip(NEXT) | instid1(VALU_DEP_1)
	v_mul_f64_e32 v[48:49], v[4:5], v[52:53]
	v_fma_f64 v[4:5], -v[50:51], v[48:49], v[4:5]
	s_delay_alu instid0(VALU_DEP_1) | instskip(NEXT) | instid1(VALU_DEP_1)
	v_div_fmas_f64 v[4:5], v[4:5], v[52:53], v[48:49]
	v_div_fixup_f64 v[4:5], v[4:5], |v[34:35]|, |v[42:43]|
	s_delay_alu instid0(VALU_DEP_1) | instskip(NEXT) | instid1(VALU_DEP_1)
	v_fma_f64 v[4:5], v[4:5], v[4:5], 1.0
	v_cmp_gt_f64_e32 vcc_lo, 0x10000000, v[4:5]
	v_cndmask_b32_e64 v8, 0, 0x100, vcc_lo
	s_delay_alu instid0(VALU_DEP_1) | instskip(SKIP_1) | instid1(VALU_DEP_2)
	v_ldexp_f64 v[4:5], v[4:5], v8
	v_cndmask_b32_e64 v8, 0, 0xffffff80, vcc_lo
	v_rsq_f64_e32 v[48:49], v[4:5]
	v_cmp_class_f64_e64 vcc_lo, v[4:5], 0x260
	s_delay_alu instid0(TRANS32_DEP_1) | instskip(SKIP_1) | instid1(VALU_DEP_1)
	v_mul_f64_e32 v[50:51], v[4:5], v[48:49]
	v_mul_f64_e32 v[48:49], 0.5, v[48:49]
	v_fma_f64 v[52:53], -v[48:49], v[50:51], 0.5
	s_delay_alu instid0(VALU_DEP_1) | instskip(SKIP_1) | instid1(VALU_DEP_2)
	v_fmac_f64_e32 v[50:51], v[50:51], v[52:53]
	v_fmac_f64_e32 v[48:49], v[48:49], v[52:53]
	v_fma_f64 v[52:53], -v[50:51], v[50:51], v[4:5]
	s_delay_alu instid0(VALU_DEP_1) | instskip(NEXT) | instid1(VALU_DEP_1)
	v_fmac_f64_e32 v[50:51], v[52:53], v[48:49]
	v_fma_f64 v[52:53], -v[50:51], v[50:51], v[4:5]
	s_delay_alu instid0(VALU_DEP_1) | instskip(NEXT) | instid1(VALU_DEP_1)
	v_fmac_f64_e32 v[50:51], v[52:53], v[48:49]
	v_ldexp_f64 v[48:49], v[50:51], v8
	s_delay_alu instid0(VALU_DEP_1) | instskip(NEXT) | instid1(VALU_DEP_1)
	v_dual_cndmask_b32 v5, v49, v5 :: v_dual_cndmask_b32 v4, v48, v4
	v_mul_f64_e64 v[48:49], |v[34:35]|, v[4:5]
.LBB21_130:                             ;   in Loop: Header=BB21_81 Depth=3
	s_or_b32 exec_lo, exec_lo, s57
.LBB21_131:                             ;   in Loop: Header=BB21_81 Depth=3
	s_and_not1_saveexec_b32 s2, s2
	s_cbranch_execz .LBB21_133
; %bb.132:                              ;   in Loop: Header=BB21_81 Depth=3
	v_and_b32_e32 v5, 0x7fffffff, v35
	v_dual_mov_b32 v4, v34 :: v_dual_mov_b32 v48, v42
	v_and_b32_e32 v49, 0x7fffffff, v43
	s_delay_alu instid0(VALU_DEP_1) | instskip(SKIP_1) | instid1(VALU_DEP_2)
	v_div_scale_f64 v[50:51], null, v[48:49], v[48:49], v[4:5]
	v_div_scale_f64 v[4:5], vcc_lo, v[4:5], v[48:49], v[4:5]
	v_rcp_f64_e32 v[52:53], v[50:51]
	v_nop
	s_delay_alu instid0(TRANS32_DEP_1) | instskip(NEXT) | instid1(VALU_DEP_1)
	v_fma_f64 v[54:55], -v[50:51], v[52:53], 1.0
	v_fmac_f64_e32 v[52:53], v[52:53], v[54:55]
	s_delay_alu instid0(VALU_DEP_1) | instskip(NEXT) | instid1(VALU_DEP_1)
	v_fma_f64 v[54:55], -v[50:51], v[52:53], 1.0
	v_fmac_f64_e32 v[52:53], v[52:53], v[54:55]
	s_delay_alu instid0(VALU_DEP_1) | instskip(NEXT) | instid1(VALU_DEP_1)
	v_mul_f64_e32 v[48:49], v[4:5], v[52:53]
	v_fma_f64 v[4:5], -v[50:51], v[48:49], v[4:5]
	s_delay_alu instid0(VALU_DEP_1) | instskip(NEXT) | instid1(VALU_DEP_1)
	v_div_fmas_f64 v[4:5], v[4:5], v[52:53], v[48:49]
	v_div_fixup_f64 v[4:5], v[4:5], |v[42:43]|, |v[34:35]|
	s_delay_alu instid0(VALU_DEP_1) | instskip(NEXT) | instid1(VALU_DEP_1)
	v_fma_f64 v[4:5], v[4:5], v[4:5], 1.0
	v_cmp_gt_f64_e32 vcc_lo, 0x10000000, v[4:5]
	v_cndmask_b32_e64 v8, 0, 0x100, vcc_lo
	s_delay_alu instid0(VALU_DEP_1) | instskip(SKIP_1) | instid1(VALU_DEP_2)
	v_ldexp_f64 v[4:5], v[4:5], v8
	v_cndmask_b32_e64 v8, 0, 0xffffff80, vcc_lo
	v_rsq_f64_e32 v[48:49], v[4:5]
	v_cmp_class_f64_e64 vcc_lo, v[4:5], 0x260
	s_delay_alu instid0(TRANS32_DEP_1) | instskip(SKIP_1) | instid1(VALU_DEP_1)
	v_mul_f64_e32 v[50:51], v[4:5], v[48:49]
	v_mul_f64_e32 v[48:49], 0.5, v[48:49]
	v_fma_f64 v[52:53], -v[48:49], v[50:51], 0.5
	s_delay_alu instid0(VALU_DEP_1) | instskip(SKIP_1) | instid1(VALU_DEP_2)
	v_fmac_f64_e32 v[50:51], v[50:51], v[52:53]
	v_fmac_f64_e32 v[48:49], v[48:49], v[52:53]
	v_fma_f64 v[52:53], -v[50:51], v[50:51], v[4:5]
	s_delay_alu instid0(VALU_DEP_1) | instskip(NEXT) | instid1(VALU_DEP_1)
	v_fmac_f64_e32 v[50:51], v[52:53], v[48:49]
	v_fma_f64 v[52:53], -v[50:51], v[50:51], v[4:5]
	s_delay_alu instid0(VALU_DEP_1) | instskip(NEXT) | instid1(VALU_DEP_1)
	v_fmac_f64_e32 v[50:51], v[52:53], v[48:49]
	v_ldexp_f64 v[48:49], v[50:51], v8
	s_delay_alu instid0(VALU_DEP_1) | instskip(NEXT) | instid1(VALU_DEP_1)
	v_dual_cndmask_b32 v5, v49, v5 :: v_dual_cndmask_b32 v4, v48, v4
	v_mul_f64_e64 v[48:49], |v[42:43]|, v[4:5]
.LBB21_133:                             ;   in Loop: Header=BB21_81 Depth=3
	s_or_b32 exec_lo, exec_lo, s2
	v_cmp_gt_f64_e64 vcc_lo, |v[2:3]|, |v[44:45]|
	v_add_f64_e32 v[52:53], v[44:45], v[2:3]
	s_mov_b32 s57, exec_lo
	v_dual_cndmask_b32 v51, v3, v45 :: v_dual_cndmask_b32 v50, v2, v44
	v_dual_cndmask_b32 v45, v45, v3 :: v_dual_cndmask_b32 v44, v44, v2
                                        ; implicit-def: $vgpr4_vgpr5
	s_delay_alu instid0(VALU_DEP_3)
	v_cmpx_ngt_f64_e32 0, v[52:53]
	s_xor_b32 s57, exec_lo, s57
	s_cbranch_execz .LBB21_139
; %bb.134:                              ;   in Loop: Header=BB21_81 Depth=3
	s_mov_b32 s2, exec_lo
                                        ; implicit-def: $vgpr4_vgpr5
	v_cmpx_nlt_f64_e32 0, v[52:53]
	s_xor_b32 s2, exec_lo, s2
	s_cbranch_execz .LBB21_136
; %bb.135:                              ;   in Loop: Header=BB21_81 Depth=3
	v_mul_f64_e32 v[2:3], 0.5, v[48:49]
	v_mul_f64_e32 v[4:5], -0.5, v[48:49]
                                        ; implicit-def: $vgpr52_vgpr53
                                        ; implicit-def: $vgpr44_vgpr45
                                        ; implicit-def: $vgpr46_vgpr47
                                        ; implicit-def: $vgpr50_vgpr51
.LBB21_136:                             ;   in Loop: Header=BB21_81 Depth=3
	s_and_not1_saveexec_b32 s90, s2
	s_cbranch_execz .LBB21_138
; %bb.137:                              ;   in Loop: Header=BB21_81 Depth=3
	v_add_f64_e32 v[2:3], v[52:53], v[48:49]
	s_delay_alu instid0(VALU_DEP_1) | instskip(NEXT) | instid1(VALU_DEP_1)
	v_mul_f64_e32 v[2:3], 0.5, v[2:3]
	v_div_scale_f64 v[4:5], null, v[2:3], v[2:3], v[44:45]
	v_div_scale_f64 v[52:53], null, v[2:3], v[2:3], v[46:47]
	v_div_scale_f64 v[62:63], vcc_lo, v[44:45], v[2:3], v[44:45]
	s_delay_alu instid0(VALU_DEP_3) | instskip(NEXT) | instid1(VALU_DEP_2)
	v_rcp_f64_e32 v[54:55], v[4:5]
	v_rcp_f64_e32 v[56:57], v[52:53]
	s_delay_alu instid0(TRANS32_DEP_2) | instskip(NEXT) | instid1(TRANS32_DEP_1)
	v_fma_f64 v[58:59], -v[4:5], v[54:55], 1.0
	v_fma_f64 v[60:61], -v[52:53], v[56:57], 1.0
	s_delay_alu instid0(VALU_DEP_2) | instskip(NEXT) | instid1(VALU_DEP_2)
	v_fmac_f64_e32 v[54:55], v[54:55], v[58:59]
	v_fmac_f64_e32 v[56:57], v[56:57], v[60:61]
	s_delay_alu instid0(VALU_DEP_2) | instskip(NEXT) | instid1(VALU_DEP_2)
	v_fma_f64 v[58:59], -v[4:5], v[54:55], 1.0
	v_fma_f64 v[60:61], -v[52:53], v[56:57], 1.0
	s_delay_alu instid0(VALU_DEP_2) | instskip(SKIP_1) | instid1(VALU_DEP_3)
	v_fmac_f64_e32 v[54:55], v[54:55], v[58:59]
	v_div_scale_f64 v[58:59], s2, v[46:47], v[2:3], v[46:47]
	v_fmac_f64_e32 v[56:57], v[56:57], v[60:61]
	s_delay_alu instid0(VALU_DEP_3) | instskip(NEXT) | instid1(VALU_DEP_2)
	v_mul_f64_e32 v[60:61], v[62:63], v[54:55]
	v_mul_f64_e32 v[66:67], v[58:59], v[56:57]
	s_delay_alu instid0(VALU_DEP_2) | instskip(NEXT) | instid1(VALU_DEP_2)
	v_fma_f64 v[4:5], -v[4:5], v[60:61], v[62:63]
	v_fma_f64 v[52:53], -v[52:53], v[66:67], v[58:59]
	s_delay_alu instid0(VALU_DEP_2) | instskip(SKIP_1) | instid1(VALU_DEP_2)
	v_div_fmas_f64 v[4:5], v[4:5], v[54:55], v[60:61]
	s_mov_b32 vcc_lo, s2
	v_div_fmas_f64 v[52:53], v[52:53], v[56:57], v[66:67]
	s_delay_alu instid0(VALU_DEP_2) | instskip(NEXT) | instid1(VALU_DEP_2)
	v_div_fixup_f64 v[4:5], v[4:5], v[2:3], v[44:45]
	v_div_fixup_f64 v[52:53], v[52:53], v[2:3], v[46:47]
	s_delay_alu instid0(VALU_DEP_1) | instskip(NEXT) | instid1(VALU_DEP_1)
	v_mul_f64_e32 v[44:45], v[46:47], v[52:53]
	v_fma_f64 v[4:5], v[50:51], v[4:5], -v[44:45]
.LBB21_138:                             ;   in Loop: Header=BB21_81 Depth=3
	s_or_b32 exec_lo, exec_lo, s90
                                        ; implicit-def: $vgpr52_vgpr53
                                        ; implicit-def: $vgpr44_vgpr45
                                        ; implicit-def: $vgpr46_vgpr47
                                        ; implicit-def: $vgpr50_vgpr51
.LBB21_139:                             ;   in Loop: Header=BB21_81 Depth=3
	s_or_saveexec_b32 s57, s57
	v_mov_b32_e32 v8, 1
	s_xor_b32 exec_lo, exec_lo, s57
	s_cbranch_execz .LBB21_141
; %bb.140:                              ;   in Loop: Header=BB21_81 Depth=3
	v_dual_add_f64 v[2:3], v[52:53], -v[48:49] :: v_dual_mov_b32 v8, -1
	s_delay_alu instid0(VALU_DEP_1) | instskip(NEXT) | instid1(VALU_DEP_1)
	v_mul_f64_e32 v[2:3], 0.5, v[2:3]
	v_div_scale_f64 v[4:5], null, v[2:3], v[2:3], v[44:45]
	v_div_scale_f64 v[52:53], null, v[2:3], v[2:3], v[46:47]
	v_div_scale_f64 v[62:63], vcc_lo, v[44:45], v[2:3], v[44:45]
	s_delay_alu instid0(VALU_DEP_3) | instskip(NEXT) | instid1(VALU_DEP_2)
	v_rcp_f64_e32 v[54:55], v[4:5]
	v_rcp_f64_e32 v[56:57], v[52:53]
	s_delay_alu instid0(TRANS32_DEP_2) | instskip(NEXT) | instid1(TRANS32_DEP_1)
	v_fma_f64 v[58:59], -v[4:5], v[54:55], 1.0
	v_fma_f64 v[60:61], -v[52:53], v[56:57], 1.0
	s_delay_alu instid0(VALU_DEP_2) | instskip(NEXT) | instid1(VALU_DEP_2)
	v_fmac_f64_e32 v[54:55], v[54:55], v[58:59]
	v_fmac_f64_e32 v[56:57], v[56:57], v[60:61]
	s_delay_alu instid0(VALU_DEP_2) | instskip(NEXT) | instid1(VALU_DEP_2)
	v_fma_f64 v[58:59], -v[4:5], v[54:55], 1.0
	v_fma_f64 v[60:61], -v[52:53], v[56:57], 1.0
	s_delay_alu instid0(VALU_DEP_2) | instskip(SKIP_1) | instid1(VALU_DEP_3)
	v_fmac_f64_e32 v[54:55], v[54:55], v[58:59]
	v_div_scale_f64 v[58:59], s2, v[46:47], v[2:3], v[46:47]
	v_fmac_f64_e32 v[56:57], v[56:57], v[60:61]
	s_delay_alu instid0(VALU_DEP_3) | instskip(NEXT) | instid1(VALU_DEP_2)
	v_mul_f64_e32 v[60:61], v[62:63], v[54:55]
	v_mul_f64_e32 v[66:67], v[58:59], v[56:57]
	s_delay_alu instid0(VALU_DEP_2) | instskip(NEXT) | instid1(VALU_DEP_2)
	v_fma_f64 v[4:5], -v[4:5], v[60:61], v[62:63]
	v_fma_f64 v[52:53], -v[52:53], v[66:67], v[58:59]
	s_delay_alu instid0(VALU_DEP_2) | instskip(SKIP_1) | instid1(VALU_DEP_2)
	v_div_fmas_f64 v[4:5], v[4:5], v[54:55], v[60:61]
	s_mov_b32 vcc_lo, s2
	v_div_fmas_f64 v[52:53], v[52:53], v[56:57], v[66:67]
	s_delay_alu instid0(VALU_DEP_2) | instskip(NEXT) | instid1(VALU_DEP_2)
	v_div_fixup_f64 v[4:5], v[4:5], v[2:3], v[44:45]
	v_div_fixup_f64 v[52:53], v[52:53], v[2:3], v[46:47]
	s_delay_alu instid0(VALU_DEP_1) | instskip(NEXT) | instid1(VALU_DEP_1)
	v_mul_f64_e32 v[44:45], v[46:47], v[52:53]
	v_fma_f64 v[4:5], v[50:51], v[4:5], -v[44:45]
.LBB21_141:                             ;   in Loop: Header=BB21_81 Depth=3
	s_or_b32 exec_lo, exec_lo, s57
	s_delay_alu instid0(SALU_CYCLE_1)
	s_mov_b32 s2, exec_lo
                                        ; implicit-def: $vgpr44_vgpr45
	v_cmpx_le_f64_e32 0, v[42:43]
	s_xor_b32 s2, exec_lo, s2
; %bb.142:                              ;   in Loop: Header=BB21_81 Depth=3
	v_add_f64_e32 v[44:45], v[42:43], v[48:49]
                                        ; implicit-def: $vgpr48_vgpr49
                                        ; implicit-def: $vgpr42_vgpr43
; %bb.143:                              ;   in Loop: Header=BB21_81 Depth=3
	s_or_saveexec_b32 s2, s2
	v_mov_b32_e32 v33, 1
	s_xor_b32 exec_lo, exec_lo, s2
; %bb.144:                              ;   in Loop: Header=BB21_81 Depth=3
	v_dual_add_f64 v[44:45], v[42:43], -v[48:49] :: v_dual_mov_b32 v33, -1
; %bb.145:                              ;   in Loop: Header=BB21_81 Depth=3
	s_or_b32 exec_lo, exec_lo, s2
	s_delay_alu instid0(VALU_DEP_1) | instskip(SKIP_1) | instid1(SALU_CYCLE_1)
	v_cmp_ngt_f64_e64 s2, |v[44:45]|, |v[34:35]|
                                        ; implicit-def: $vgpr42_vgpr43
                                        ; implicit-def: $vgpr46_vgpr47
	s_and_saveexec_b32 s57, s2
	s_xor_b32 s2, exec_lo, s57
	s_cbranch_execz .LBB21_149
; %bb.146:                              ;   in Loop: Header=BB21_81 Depth=3
	v_mov_b64_e32 v[42:43], 0
	v_mov_b64_e32 v[46:47], 1.0
	s_mov_b32 s57, exec_lo
	v_cmpx_neq_f64_e32 0, v[34:35]
	s_cbranch_execz .LBB21_148
; %bb.147:                              ;   in Loop: Header=BB21_81 Depth=3
	v_div_scale_f64 v[42:43], null, v[34:35], v[34:35], -v[44:45]
	v_div_scale_f64 v[50:51], vcc_lo, -v[44:45], v[34:35], -v[44:45]
	s_delay_alu instid0(VALU_DEP_2) | instskip(SKIP_1) | instid1(TRANS32_DEP_1)
	v_rcp_f64_e32 v[46:47], v[42:43]
	v_nop
	v_fma_f64 v[48:49], -v[42:43], v[46:47], 1.0
	s_delay_alu instid0(VALU_DEP_1) | instskip(NEXT) | instid1(VALU_DEP_1)
	v_fmac_f64_e32 v[46:47], v[46:47], v[48:49]
	v_fma_f64 v[48:49], -v[42:43], v[46:47], 1.0
	s_delay_alu instid0(VALU_DEP_1) | instskip(NEXT) | instid1(VALU_DEP_1)
	v_fmac_f64_e32 v[46:47], v[46:47], v[48:49]
	v_mul_f64_e32 v[48:49], v[50:51], v[46:47]
	s_delay_alu instid0(VALU_DEP_1) | instskip(NEXT) | instid1(VALU_DEP_1)
	v_fma_f64 v[42:43], -v[42:43], v[48:49], v[50:51]
	v_div_fmas_f64 v[42:43], v[42:43], v[46:47], v[48:49]
	s_delay_alu instid0(VALU_DEP_1) | instskip(NEXT) | instid1(VALU_DEP_1)
	v_div_fixup_f64 v[34:35], v[42:43], v[34:35], -v[44:45]
	v_fma_f64 v[42:43], v[34:35], v[34:35], 1.0
	s_delay_alu instid0(VALU_DEP_1) | instskip(SKIP_1) | instid1(VALU_DEP_1)
	v_cmp_gt_f64_e32 vcc_lo, 0x10000000, v[42:43]
	v_cndmask_b32_e64 v37, 0, 0x100, vcc_lo
	v_ldexp_f64 v[42:43], v[42:43], v37
	v_cndmask_b32_e64 v37, 0, 0xffffff80, vcc_lo
	s_delay_alu instid0(VALU_DEP_2) | instskip(SKIP_1) | instid1(TRANS32_DEP_1)
	v_rsq_f64_e32 v[44:45], v[42:43]
	v_cmp_class_f64_e64 vcc_lo, v[42:43], 0x260
	v_mul_f64_e32 v[46:47], v[42:43], v[44:45]
	v_mul_f64_e32 v[44:45], 0.5, v[44:45]
	s_delay_alu instid0(VALU_DEP_1) | instskip(NEXT) | instid1(VALU_DEP_1)
	v_fma_f64 v[48:49], -v[44:45], v[46:47], 0.5
	v_fmac_f64_e32 v[46:47], v[46:47], v[48:49]
	v_fmac_f64_e32 v[44:45], v[44:45], v[48:49]
	s_delay_alu instid0(VALU_DEP_2) | instskip(NEXT) | instid1(VALU_DEP_1)
	v_fma_f64 v[48:49], -v[46:47], v[46:47], v[42:43]
	v_fmac_f64_e32 v[46:47], v[48:49], v[44:45]
	s_delay_alu instid0(VALU_DEP_1) | instskip(NEXT) | instid1(VALU_DEP_1)
	v_fma_f64 v[48:49], -v[46:47], v[46:47], v[42:43]
	v_fmac_f64_e32 v[46:47], v[48:49], v[44:45]
	s_delay_alu instid0(VALU_DEP_1) | instskip(NEXT) | instid1(VALU_DEP_1)
	v_ldexp_f64 v[44:45], v[46:47], v37
	v_dual_cndmask_b32 v43, v45, v43 :: v_dual_cndmask_b32 v42, v44, v42
	s_delay_alu instid0(VALU_DEP_1) | instskip(NEXT) | instid1(VALU_DEP_1)
	v_div_scale_f64 v[44:45], null, v[42:43], v[42:43], 1.0
	v_rcp_f64_e32 v[46:47], v[44:45]
	v_nop
	s_delay_alu instid0(TRANS32_DEP_1) | instskip(NEXT) | instid1(VALU_DEP_1)
	v_fma_f64 v[48:49], -v[44:45], v[46:47], 1.0
	v_fmac_f64_e32 v[46:47], v[46:47], v[48:49]
	s_delay_alu instid0(VALU_DEP_1) | instskip(NEXT) | instid1(VALU_DEP_1)
	v_fma_f64 v[48:49], -v[44:45], v[46:47], 1.0
	v_fmac_f64_e32 v[46:47], v[46:47], v[48:49]
	v_div_scale_f64 v[48:49], vcc_lo, 1.0, v[42:43], 1.0
	s_delay_alu instid0(VALU_DEP_1) | instskip(NEXT) | instid1(VALU_DEP_1)
	v_mul_f64_e32 v[50:51], v[48:49], v[46:47]
	v_fma_f64 v[44:45], -v[44:45], v[50:51], v[48:49]
	s_delay_alu instid0(VALU_DEP_1) | instskip(NEXT) | instid1(VALU_DEP_1)
	v_div_fmas_f64 v[44:45], v[44:45], v[46:47], v[50:51]
	v_div_fixup_f64 v[46:47], v[44:45], v[42:43], 1.0
	s_delay_alu instid0(VALU_DEP_1)
	v_mul_f64_e32 v[42:43], v[34:35], v[46:47]
.LBB21_148:                             ;   in Loop: Header=BB21_81 Depth=3
	s_or_b32 exec_lo, exec_lo, s57
                                        ; implicit-def: $vgpr44_vgpr45
                                        ; implicit-def: $vgpr34_vgpr35
.LBB21_149:                             ;   in Loop: Header=BB21_81 Depth=3
	s_and_not1_saveexec_b32 s2, s2
	s_cbranch_execz .LBB21_151
; %bb.150:                              ;   in Loop: Header=BB21_81 Depth=3
	v_div_scale_f64 v[42:43], null, v[44:45], v[44:45], -v[34:35]
	v_div_scale_f64 v[50:51], vcc_lo, -v[34:35], v[44:45], -v[34:35]
	s_delay_alu instid0(VALU_DEP_2) | instskip(SKIP_1) | instid1(TRANS32_DEP_1)
	v_rcp_f64_e32 v[46:47], v[42:43]
	v_nop
	v_fma_f64 v[48:49], -v[42:43], v[46:47], 1.0
	s_delay_alu instid0(VALU_DEP_1) | instskip(NEXT) | instid1(VALU_DEP_1)
	v_fmac_f64_e32 v[46:47], v[46:47], v[48:49]
	v_fma_f64 v[48:49], -v[42:43], v[46:47], 1.0
	s_delay_alu instid0(VALU_DEP_1) | instskip(NEXT) | instid1(VALU_DEP_1)
	v_fmac_f64_e32 v[46:47], v[46:47], v[48:49]
	v_mul_f64_e32 v[48:49], v[50:51], v[46:47]
	s_delay_alu instid0(VALU_DEP_1) | instskip(NEXT) | instid1(VALU_DEP_1)
	v_fma_f64 v[42:43], -v[42:43], v[48:49], v[50:51]
	v_div_fmas_f64 v[42:43], v[42:43], v[46:47], v[48:49]
	s_delay_alu instid0(VALU_DEP_1) | instskip(NEXT) | instid1(VALU_DEP_1)
	v_div_fixup_f64 v[34:35], v[42:43], v[44:45], -v[34:35]
	v_fma_f64 v[42:43], v[34:35], v[34:35], 1.0
	s_delay_alu instid0(VALU_DEP_1) | instskip(SKIP_1) | instid1(VALU_DEP_1)
	v_cmp_gt_f64_e32 vcc_lo, 0x10000000, v[42:43]
	v_cndmask_b32_e64 v37, 0, 0x100, vcc_lo
	v_ldexp_f64 v[42:43], v[42:43], v37
	v_cndmask_b32_e64 v37, 0, 0xffffff80, vcc_lo
	s_delay_alu instid0(VALU_DEP_2) | instskip(SKIP_1) | instid1(TRANS32_DEP_1)
	v_rsq_f64_e32 v[44:45], v[42:43]
	v_cmp_class_f64_e64 vcc_lo, v[42:43], 0x260
	v_mul_f64_e32 v[46:47], v[42:43], v[44:45]
	v_mul_f64_e32 v[44:45], 0.5, v[44:45]
	s_delay_alu instid0(VALU_DEP_1) | instskip(NEXT) | instid1(VALU_DEP_1)
	v_fma_f64 v[48:49], -v[44:45], v[46:47], 0.5
	v_fmac_f64_e32 v[46:47], v[46:47], v[48:49]
	v_fmac_f64_e32 v[44:45], v[44:45], v[48:49]
	s_delay_alu instid0(VALU_DEP_2) | instskip(NEXT) | instid1(VALU_DEP_1)
	v_fma_f64 v[48:49], -v[46:47], v[46:47], v[42:43]
	v_fmac_f64_e32 v[46:47], v[48:49], v[44:45]
	s_delay_alu instid0(VALU_DEP_1) | instskip(NEXT) | instid1(VALU_DEP_1)
	v_fma_f64 v[48:49], -v[46:47], v[46:47], v[42:43]
	v_fmac_f64_e32 v[46:47], v[48:49], v[44:45]
	s_delay_alu instid0(VALU_DEP_1) | instskip(NEXT) | instid1(VALU_DEP_1)
	v_ldexp_f64 v[44:45], v[46:47], v37
	v_dual_cndmask_b32 v43, v45, v43 :: v_dual_cndmask_b32 v42, v44, v42
	s_delay_alu instid0(VALU_DEP_1) | instskip(NEXT) | instid1(VALU_DEP_1)
	v_div_scale_f64 v[44:45], null, v[42:43], v[42:43], 1.0
	v_rcp_f64_e32 v[46:47], v[44:45]
	v_nop
	s_delay_alu instid0(TRANS32_DEP_1) | instskip(NEXT) | instid1(VALU_DEP_1)
	v_fma_f64 v[48:49], -v[44:45], v[46:47], 1.0
	v_fmac_f64_e32 v[46:47], v[46:47], v[48:49]
	s_delay_alu instid0(VALU_DEP_1) | instskip(NEXT) | instid1(VALU_DEP_1)
	v_fma_f64 v[48:49], -v[44:45], v[46:47], 1.0
	v_fmac_f64_e32 v[46:47], v[46:47], v[48:49]
	v_div_scale_f64 v[48:49], vcc_lo, 1.0, v[42:43], 1.0
	s_delay_alu instid0(VALU_DEP_1) | instskip(NEXT) | instid1(VALU_DEP_1)
	v_mul_f64_e32 v[50:51], v[48:49], v[46:47]
	v_fma_f64 v[44:45], -v[44:45], v[50:51], v[48:49]
	s_delay_alu instid0(VALU_DEP_1) | instskip(NEXT) | instid1(VALU_DEP_1)
	v_div_fmas_f64 v[44:45], v[44:45], v[46:47], v[50:51]
	v_div_fixup_f64 v[42:43], v[44:45], v[42:43], 1.0
	s_delay_alu instid0(VALU_DEP_1)
	v_mul_f64_e32 v[46:47], v[34:35], v[42:43]
.LBB21_151:                             ;   in Loop: Header=BB21_81 Depth=3
	s_or_b32 exec_lo, exec_lo, s2
	v_cmp_eq_u32_e32 vcc_lo, v8, v33
	v_ashrrev_i32_e32 v37, 31, v36
	s_delay_alu instid0(VALU_DEP_3) | instskip(SKIP_2) | instid1(VALU_DEP_4)
	v_xor_b32_e32 v44, 0x80000000, v43
	v_lshl_add_u64 v[40:41], v[40:41], 3, s[66:67]
	v_dual_cndmask_b32 v43, v43, v47 :: v_dual_add_nc_u32 v8, -2, v32
	v_lshl_add_u64 v[34:35], v[36:37], 3, s[70:71]
	s_delay_alu instid0(VALU_DEP_4) | instskip(SKIP_1) | instid1(VALU_DEP_3)
	v_dual_cndmask_b32 v37, v47, v44 :: v_dual_cndmask_b32 v36, v46, v42
	v_cndmask_b32_e32 v42, v42, v46, vcc_lo
	v_lshl_add_u64 v[44:45], s[60:61], 3, v[34:35]
	s_clause 0x1
	global_store_b64 v[34:35], v[36:37], off
	global_store_b64 v[44:45], v[42:43], off offset:-8
	global_store_b128 v[38:39], v[2:5], off offset:-8
	global_store_b64 v[40:41], v[14:15], off offset:-8
	ds_store_b32 v9, v8 offset:16
	s_wait_xcnt 0x0
	s_or_b32 exec_lo, exec_lo, s3
                                        ; implicit-def: $vgpr2
.LBB21_152:                             ;   in Loop: Header=BB21_81 Depth=3
	s_and_not1_saveexec_b32 s2, s30
.LBB21_153:                             ;   in Loop: Header=BB21_81 Depth=3
	ds_store_b32 v9, v2 offset:16
.LBB21_154:                             ;   in Loop: Header=BB21_81 Depth=3
	s_or_b32 exec_lo, exec_lo, s2
.LBB21_155:                             ;   in Loop: Header=BB21_81 Depth=3
	s_delay_alu instid0(SALU_CYCLE_1)
	s_or_b32 exec_lo, exec_lo, s21
	s_wait_storecnt_dscnt 0x0
	s_barrier_signal -1
	s_barrier_wait -1
	ds_load_b64 v[2:3], v9 offset:16
	s_wait_dscnt 0x0
	v_readfirstlane_b32 s90, v3
	s_delay_alu instid0(VALU_DEP_1)
	v_cmp_eq_u32_e32 vcc_lo, s90, v2
	v_mov_b32_e32 v32, s90
	s_cbranch_vccnz .LBB21_80
; %bb.156:                              ;   in Loop: Header=BB21_81 Depth=3
	s_and_saveexec_b32 s21, s1
	s_cbranch_execz .LBB21_79
; %bb.157:                              ;   in Loop: Header=BB21_81 Depth=3
	ds_load_b32 v2, v9 offset:28
	s_mul_i32 s92, s90, s23
	s_ashr_i32 s91, s90, 31
	s_ashr_i32 s93, s92, 31
	s_lshl_b64 s[2:3], s[90:91], 3
	s_lshl_b64 s[94:95], s[92:93], 3
	v_mov_b32_e32 v8, v0
	s_add_nc_u64 s[92:93], s[68:69], s[94:95]
	s_add_nc_u64 s[2:3], s[70:71], s[2:3]
	s_mov_b32 s57, 0
	s_wait_dscnt 0x0
	v_readfirstlane_b32 s30, v2
	v_add_nc_u64_e32 v[2:3], s[94:95], v[30:31]
	s_sub_co_i32 s90, s30, s90
	s_delay_alu instid0(SALU_CYCLE_1) | instskip(SKIP_2) | instid1(SALU_CYCLE_1)
	s_cmp_gt_i32 s90, 0
	s_cselect_b32 s30, -1, 0
	s_ashr_i32 s91, s90, 31
	s_mul_u64 s[94:95], s[90:91], s[34:35]
	s_delay_alu instid0(SALU_CYCLE_1) | instskip(NEXT) | instid1(SALU_CYCLE_1)
	s_lshl_b64 s[94:95], s[94:95], 3
	s_add_nc_u64 s[94:95], s[92:93], s[94:95]
	s_branch .LBB21_159
.LBB21_158:                             ;   in Loop: Header=BB21_159 Depth=4
	v_lshl_add_u64 v[32:33], v[8:9], 3, s[94:95]
	s_wait_xcnt 0x0
	v_add_nc_u32_e32 v8, s33, v8
	v_add_nc_u64_e32 v[2:3], s[40:41], v[2:3]
	s_wait_loadcnt 0x0
	global_store_b64 v[32:33], v[4:5], off
	v_cmp_le_i32_e32 vcc_lo, s60, v8
	s_or_b32 s57, vcc_lo, s57
	s_wait_xcnt 0x0
	s_and_not1_b32 exec_lo, exec_lo, s57
	s_cbranch_execz .LBB21_79
.LBB21_159:                             ;   Parent Loop BB21_7 Depth=1
                                        ;     Parent Loop BB21_20 Depth=2
                                        ;       Parent Loop BB21_81 Depth=3
                                        ; =>      This Loop Header: Depth=4
                                        ;           Child Loop BB21_160 Depth 5
	global_load_b64 v[4:5], v8, s[92:93] scale_offset
	v_mov_b64_e32 v[32:33], v[2:3]
	s_and_not1_b32 vcc_lo, exec_lo, s30
	s_mov_b64 s[96:97], s[2:3]
	s_mov_b32 s91, s90
	s_cbranch_vccnz .LBB21_158
.LBB21_160:                             ;   Parent Loop BB21_7 Depth=1
                                        ;     Parent Loop BB21_20 Depth=2
                                        ;       Parent Loop BB21_81 Depth=3
                                        ;         Parent Loop BB21_159 Depth=4
                                        ; =>        This Inner Loop Header: Depth=5
	s_delay_alu instid0(VALU_DEP_1)
	v_add_nc_u64_e32 v[34:35], s[48:49], v[32:33]
	s_add_nc_u64 s[98:99], s[96:97], s[82:83]
	s_add_co_i32 s91, s91, -1
	global_load_b64 v[36:37], v[34:35], off
	s_clause 0x1
	global_load_b64 v[38:39], v9, s[98:99]
	global_load_b64 v[40:41], v9, s[96:97]
	s_cmp_eq_u32 s91, 0
	s_wait_xcnt 0x0
	s_add_nc_u64 s[96:97], s[96:97], 8
	s_wait_loadcnt 0x1
	v_mul_f64_e32 v[42:43], v[38:39], v[36:37]
	v_mul_f64_e32 v[38:39], v[4:5], v[38:39]
	s_wait_loadcnt 0x0
	s_delay_alu instid0(VALU_DEP_2) | instskip(NEXT) | instid1(VALU_DEP_2)
	v_fmac_f64_e32 v[42:43], v[4:5], v[40:41]
	v_fma_f64 v[4:5], v[40:41], v[36:37], -v[38:39]
	global_store_b64 v[32:33], v[42:43], off
	s_wait_xcnt 0x0
	v_mov_b64_e32 v[32:33], v[34:35]
	s_cbranch_scc0 .LBB21_160
	s_branch .LBB21_158
.LBB21_161:                             ;   in Loop: Header=BB21_81 Depth=3
	s_or_b32 exec_lo, exec_lo, s3
                                        ; implicit-def: $vgpr2
	s_and_not1_saveexec_b32 s2, s30
	s_cbranch_execnz .LBB21_153
	s_branch .LBB21_154
.LBB21_162:                             ;   in Loop: Header=BB21_164 Depth=3
	s_or_b32 exec_lo, exec_lo, s3
	s_wait_storecnt 0x0
	s_barrier_signal -1
	s_barrier_wait -1
	ds_load_b32 v40, v9 offset:16
.LBB21_163:                             ;   in Loop: Header=BB21_164 Depth=3
	ds_load_b64 v[46:47], v9 offset:32
	s_wait_dscnt 0x0
	v_cmp_le_i32_e32 vcc_lo, v40, v46
	v_cmp_gt_i32_e64 s3, s15, v47
	s_and_b32 s3, vcc_lo, s3
	s_delay_alu instid0(SALU_CYCLE_1)
	s_and_not1_b32 vcc_lo, exec_lo, s3
	s_cbranch_vccnz .LBB21_63
.LBB21_164:                             ;   Parent Loop BB21_7 Depth=1
                                        ;     Parent Loop BB21_20 Depth=2
                                        ; =>    This Loop Header: Depth=3
                                        ;         Child Loop BB21_170 Depth 4
                                        ;         Child Loop BB21_190 Depth 4
	;; [unrolled: 1-line block ×3, first 2 shown]
                                        ;           Child Loop BB21_242 Depth 5
	s_and_saveexec_b32 s21, s0
	s_cbranch_execz .LBB21_237
; %bb.165:                              ;   in Loop: Header=BB21_164 Depth=3
	v_cmp_lt_i32_e32 vcc_lo, v40, v46
	s_mov_b32 s3, 0
	s_cbranch_vccnz .LBB21_167
; %bb.166:                              ;   in Loop: Header=BB21_164 Depth=3
	v_ashrrev_i32_e32 v41, 31, v40
	s_mov_b32 s30, -1
	s_delay_alu instid0(VALU_DEP_1)
	v_mov_b64_e32 v[44:45], v[40:41]
	v_mov_b32_e32 v2, v40
	s_cbranch_execz .LBB21_168
	s_branch .LBB21_173
.LBB21_167:                             ;   in Loop: Header=BB21_164 Depth=3
	s_mov_b32 s30, 0
                                        ; implicit-def: $vgpr44_vgpr45
	v_mov_b32_e32 v2, v40
.LBB21_168:                             ;   in Loop: Header=BB21_164 Depth=3
	v_dual_mov_b32 v8, v40 :: v_dual_ashrrev_i32 v41, 31, v40
	s_delay_alu instid0(VALU_DEP_1) | instskip(NEXT) | instid1(VALU_DEP_1)
	v_lshlrev_b64_e32 v[2:3], 3, v[40:41]
	v_add_nc_u64_e32 v[4:5], s[66:67], v[2:3]
	v_add_nc_u64_e32 v[2:3], s[74:75], v[2:3]
	s_branch .LBB21_170
.LBB21_169:                             ;   in Loop: Header=BB21_170 Depth=4
	v_add_nc_u32_e32 v8, 1, v33
	v_add_nc_u64_e32 v[4:5], 8, v[36:37]
	v_add_nc_u64_e32 v[2:3], 8, v[2:3]
	s_mov_b32 s3, 0
	s_delay_alu instid0(VALU_DEP_3)
	v_cmp_ge_i32_e64 s30, v8, v46
	s_and_not1_b32 vcc_lo, exec_lo, s30
	s_cbranch_vccz .LBB21_172
.LBB21_170:                             ;   Parent Loop BB21_7 Depth=1
                                        ;     Parent Loop BB21_20 Depth=2
                                        ;       Parent Loop BB21_164 Depth=3
                                        ; =>      This Inner Loop Header: Depth=4
	global_load_b128 v[42:45], v[2:3], off
	v_mov_b64_e32 v[36:37], v[4:5]
	global_load_b64 v[4:5], v[4:5], off
	s_wait_loadcnt 0x1
	v_dual_mul_f64 v[38:39], v[42:43], v[44:45] :: v_dual_mov_b32 v33, v8
	s_wait_loadcnt 0x0
	v_mul_f64_e32 v[4:5], v[4:5], v[4:5]
	s_delay_alu instid0(VALU_DEP_2) | instskip(NEXT) | instid1(VALU_DEP_1)
	v_mul_f64_e64 v[38:39], v[6:7], |v[38:39]|
	v_cmp_le_f64_e64 s3, |v[4:5]|, v[38:39]
	s_and_b32 vcc_lo, exec_lo, s3
	s_cbranch_vccz .LBB21_169
; %bb.171:                              ;   in Loop: Header=BB21_164 Depth=3
	s_mov_b32 s3, -1
                                        ; implicit-def: $vgpr8
                                        ; implicit-def: $vgpr4_vgpr5
                                        ; implicit-def: $vgpr2_vgpr3
.LBB21_172:                             ;   in Loop: Header=BB21_164 Depth=3
	v_mov_b64_e32 v[38:39], v[40:41]
	v_mov_b64_e32 v[44:45], v[40:41]
	v_mov_b32_e32 v2, v46
	s_xor_b32 s30, s3, -1
	s_mov_b32 s3, -1
.LBB21_173:                             ;   in Loop: Header=BB21_164 Depth=3
	s_and_b32 vcc_lo, exec_lo, s30
	s_cbranch_vccnz .LBB21_202
; %bb.174:                              ;   in Loop: Header=BB21_164 Depth=3
	s_and_not1_b32 vcc_lo, exec_lo, s3
	s_cbranch_vccnz .LBB21_176
.LBB21_175:                             ;   in Loop: Header=BB21_164 Depth=3
	v_mov_b64_e32 v[44:45], v[38:39]
	v_mov_b32_e32 v2, v33
	ds_store_2addr_b32 v9, v33, v40 offset0:5 offset1:7
	global_store_b64 v[36:37], v[14:15], off
.LBB21_176:                             ;   in Loop: Header=BB21_164 Depth=3
	v_lshl_add_u64 v[42:43], v[44:45], 3, s[64:65]
	v_add_nc_u32_e32 v3, 1, v40
	s_mov_b32 s3, exec_lo
	global_load_b64 v[52:53], v[42:43], off
	s_wait_loadcnt 0x0
	ds_store_b64 v9, v[52:53]
	s_wait_xcnt 0x0
	v_cmpx_ne_u32_e64 v2, v40
	s_xor_b32 s30, exec_lo, s3
	s_cbranch_execz .LBB21_234
; %bb.177:                              ;   in Loop: Header=BB21_164 Depth=3
	s_mov_b32 s3, exec_lo
	v_cmpx_ne_u32_e64 v2, v3
	s_xor_b32 s3, exec_lo, s3
	s_cbranch_execz .LBB21_206
; %bb.178:                              ;   in Loop: Header=BB21_164 Depth=3
	v_lshl_add_u64 v[4:5], v[44:45], 3, s[66:67]
	s_mov_b32 s57, exec_lo
	global_load_b64 v[44:45], v[42:43], off offset:8
	global_load_b64 v[48:49], v[4:5], off
	global_load_b64 v[50:51], v2, s[64:65] scale_offset
	s_wait_loadcnt 0x2
	v_add_f64_e64 v[44:45], v[44:45], -v[52:53]
	s_wait_loadcnt 0x1
	v_add_f64_e32 v[54:55], v[48:49], v[48:49]
	s_delay_alu instid0(VALU_DEP_1) | instskip(SKIP_1) | instid1(VALU_DEP_2)
	v_div_scale_f64 v[56:57], null, v[54:55], v[54:55], v[44:45]
	v_div_scale_f64 v[62:63], vcc_lo, v[44:45], v[54:55], v[44:45]
	v_rcp_f64_e32 v[58:59], v[56:57]
	v_nop
	s_delay_alu instid0(TRANS32_DEP_1) | instskip(NEXT) | instid1(VALU_DEP_1)
	v_fma_f64 v[60:61], -v[56:57], v[58:59], 1.0
	v_fmac_f64_e32 v[58:59], v[58:59], v[60:61]
	s_delay_alu instid0(VALU_DEP_1) | instskip(NEXT) | instid1(VALU_DEP_1)
	v_fma_f64 v[60:61], -v[56:57], v[58:59], 1.0
	v_fmac_f64_e32 v[58:59], v[58:59], v[60:61]
	s_delay_alu instid0(VALU_DEP_1) | instskip(NEXT) | instid1(VALU_DEP_1)
	v_mul_f64_e32 v[60:61], v[62:63], v[58:59]
	v_fma_f64 v[56:57], -v[56:57], v[60:61], v[62:63]
	s_delay_alu instid0(VALU_DEP_1) | instskip(NEXT) | instid1(VALU_DEP_1)
	v_div_fmas_f64 v[56:57], v[56:57], v[58:59], v[60:61]
	v_div_fixup_f64 v[44:45], v[56:57], v[54:55], v[44:45]
	s_delay_alu instid0(VALU_DEP_1) | instskip(NEXT) | instid1(VALU_DEP_1)
	v_fma_f64 v[54:55], v[44:45], v[44:45], 1.0
	v_cmp_gt_f64_e32 vcc_lo, 0x10000000, v[54:55]
	v_cndmask_b32_e64 v3, 0, 0x100, vcc_lo
	s_delay_alu instid0(VALU_DEP_1) | instskip(SKIP_1) | instid1(VALU_DEP_2)
	v_ldexp_f64 v[54:55], v[54:55], v3
	v_cndmask_b32_e64 v3, 0, 0xffffff80, vcc_lo
	v_rsq_f64_e32 v[56:57], v[54:55]
	v_cmp_class_f64_e64 vcc_lo, v[54:55], 0x260
	s_delay_alu instid0(TRANS32_DEP_1) | instskip(SKIP_1) | instid1(VALU_DEP_1)
	v_mul_f64_e32 v[58:59], v[54:55], v[56:57]
	v_mul_f64_e32 v[56:57], 0.5, v[56:57]
	v_fma_f64 v[60:61], -v[56:57], v[58:59], 0.5
	s_delay_alu instid0(VALU_DEP_1) | instskip(SKIP_1) | instid1(VALU_DEP_2)
	v_fmac_f64_e32 v[58:59], v[58:59], v[60:61]
	v_fmac_f64_e32 v[56:57], v[56:57], v[60:61]
	v_fma_f64 v[60:61], -v[58:59], v[58:59], v[54:55]
	s_delay_alu instid0(VALU_DEP_1) | instskip(NEXT) | instid1(VALU_DEP_1)
	v_fmac_f64_e32 v[58:59], v[60:61], v[56:57]
	v_fma_f64 v[60:61], -v[58:59], v[58:59], v[54:55]
	s_delay_alu instid0(VALU_DEP_1) | instskip(NEXT) | instid1(VALU_DEP_1)
	v_fmac_f64_e32 v[58:59], v[60:61], v[56:57]
	v_ldexp_f64 v[56:57], v[58:59], v3
	s_delay_alu instid0(VALU_DEP_1) | instskip(SKIP_1) | instid1(VALU_DEP_2)
	v_dual_cndmask_b32 v3, v57, v55 :: v_dual_cndmask_b32 v54, v56, v54
	v_cmp_nle_f64_e32 vcc_lo, 0, v[44:45]
	v_and_b32_e32 v8, 0x7fffffff, v3
	v_or_b32_e32 v3, 0x80000000, v3
	s_delay_alu instid0(VALU_DEP_1) | instskip(SKIP_4) | instid1(VALU_DEP_1)
	v_cndmask_b32_e32 v55, v8, v3, vcc_lo
	v_add_nc_u32_e32 v3, 1, v47
	ds_store_b32 v9, v3 offset:36
	ds_store_b64 v9, v[14:15]
	v_add_f64_e32 v[44:45], v[44:45], v[54:55]
	v_div_scale_f64 v[54:55], null, v[44:45], v[44:45], v[48:49]
	s_delay_alu instid0(VALU_DEP_1) | instskip(SKIP_1) | instid1(TRANS32_DEP_1)
	v_rcp_f64_e32 v[56:57], v[54:55]
	v_nop
	v_fma_f64 v[58:59], -v[54:55], v[56:57], 1.0
	s_delay_alu instid0(VALU_DEP_1) | instskip(NEXT) | instid1(VALU_DEP_1)
	v_fmac_f64_e32 v[56:57], v[56:57], v[58:59]
	v_fma_f64 v[58:59], -v[54:55], v[56:57], 1.0
	s_delay_alu instid0(VALU_DEP_1) | instskip(SKIP_1) | instid1(VALU_DEP_1)
	v_fmac_f64_e32 v[56:57], v[56:57], v[58:59]
	v_div_scale_f64 v[58:59], vcc_lo, v[48:49], v[44:45], v[48:49]
	v_mul_f64_e32 v[60:61], v[58:59], v[56:57]
	s_delay_alu instid0(VALU_DEP_1) | instskip(NEXT) | instid1(VALU_DEP_1)
	v_fma_f64 v[54:55], -v[54:55], v[60:61], v[58:59]
	v_div_fmas_f64 v[54:55], v[54:55], v[56:57], v[60:61]
	s_wait_loadcnt 0x0
	v_add_f64_e64 v[56:57], v[50:51], -v[52:53]
	s_delay_alu instid0(VALU_DEP_2) | instskip(SKIP_1) | instid1(VALU_DEP_2)
	v_div_fixup_f64 v[44:45], v[54:55], v[44:45], v[48:49]
	v_mov_b64_e32 v[48:49], 0
	v_add_f64_e32 v[44:45], v[56:57], v[44:45]
	s_wait_xcnt 0x0
	v_cmpx_gt_i32_e64 v2, v40
	s_cbranch_execz .LBB21_205
; %bb.179:                              ;   in Loop: Header=BB21_164 Depth=3
	v_ashrrev_i32_e32 v3, 31, v2
	v_mov_b64_e32 v[56:57], 0
	s_mov_b32 s90, exec_lo
	s_delay_alu instid0(VALU_DEP_2)
	v_lshl_add_u64 v[46:47], v[2:3], 3, s[66:67]
	global_load_b64 v[52:53], v[46:47], off offset:-8
	s_wait_xcnt 0x0
	v_mov_b64_e32 v[46:47], 1.0
	s_wait_loadcnt 0x0
	v_cmpx_neq_f64_e32 0, v[52:53]
	s_cbranch_execz .LBB21_187
; %bb.180:                              ;   in Loop: Header=BB21_164 Depth=3
	v_mov_b64_e32 v[46:47], 0
	v_mov_b64_e32 v[56:57], 1.0
	s_mov_b32 s91, exec_lo
	v_cmpx_neq_f64_e32 0, v[44:45]
	s_cbranch_execz .LBB21_186
; %bb.181:                              ;   in Loop: Header=BB21_164 Depth=3
	v_cmp_ngt_f64_e64 s92, |v[52:53]|, |v[44:45]|
                                        ; implicit-def: $vgpr56_vgpr57
                                        ; implicit-def: $vgpr46_vgpr47
	s_and_saveexec_b32 s93, s92
	s_delay_alu instid0(SALU_CYCLE_1)
	s_xor_b32 s92, exec_lo, s93
	s_cbranch_execz .LBB21_183
; %bb.182:                              ;   in Loop: Header=BB21_164 Depth=3
	v_div_scale_f64 v[46:47], null, v[44:45], v[44:45], -v[52:53]
	v_div_scale_f64 v[56:57], vcc_lo, -v[52:53], v[44:45], -v[52:53]
	s_delay_alu instid0(VALU_DEP_2) | instskip(SKIP_1) | instid1(TRANS32_DEP_1)
	v_rcp_f64_e32 v[48:49], v[46:47]
	v_nop
	v_fma_f64 v[54:55], -v[46:47], v[48:49], 1.0
	s_delay_alu instid0(VALU_DEP_1) | instskip(NEXT) | instid1(VALU_DEP_1)
	v_fmac_f64_e32 v[48:49], v[48:49], v[54:55]
	v_fma_f64 v[54:55], -v[46:47], v[48:49], 1.0
	s_delay_alu instid0(VALU_DEP_1) | instskip(NEXT) | instid1(VALU_DEP_1)
	v_fmac_f64_e32 v[48:49], v[48:49], v[54:55]
	v_mul_f64_e32 v[54:55], v[56:57], v[48:49]
	s_delay_alu instid0(VALU_DEP_1) | instskip(NEXT) | instid1(VALU_DEP_1)
	v_fma_f64 v[46:47], -v[46:47], v[54:55], v[56:57]
	v_div_fmas_f64 v[46:47], v[46:47], v[48:49], v[54:55]
	s_delay_alu instid0(VALU_DEP_1) | instskip(NEXT) | instid1(VALU_DEP_1)
	v_div_fixup_f64 v[44:45], v[46:47], v[44:45], -v[52:53]
	v_fma_f64 v[46:47], v[44:45], v[44:45], 1.0
	s_delay_alu instid0(VALU_DEP_1) | instskip(SKIP_1) | instid1(VALU_DEP_1)
	v_cmp_gt_f64_e32 vcc_lo, 0x10000000, v[46:47]
	v_cndmask_b32_e64 v8, 0, 0x100, vcc_lo
	v_ldexp_f64 v[46:47], v[46:47], v8
	v_cndmask_b32_e64 v8, 0, 0xffffff80, vcc_lo
	s_delay_alu instid0(VALU_DEP_2) | instskip(SKIP_1) | instid1(TRANS32_DEP_1)
	v_rsq_f64_e32 v[48:49], v[46:47]
	v_cmp_class_f64_e64 vcc_lo, v[46:47], 0x260
	v_mul_f64_e32 v[54:55], v[46:47], v[48:49]
	v_mul_f64_e32 v[48:49], 0.5, v[48:49]
	s_delay_alu instid0(VALU_DEP_1) | instskip(NEXT) | instid1(VALU_DEP_1)
	v_fma_f64 v[56:57], -v[48:49], v[54:55], 0.5
	v_fmac_f64_e32 v[54:55], v[54:55], v[56:57]
	v_fmac_f64_e32 v[48:49], v[48:49], v[56:57]
	s_delay_alu instid0(VALU_DEP_2) | instskip(NEXT) | instid1(VALU_DEP_1)
	v_fma_f64 v[56:57], -v[54:55], v[54:55], v[46:47]
	v_fmac_f64_e32 v[54:55], v[56:57], v[48:49]
	s_delay_alu instid0(VALU_DEP_1) | instskip(NEXT) | instid1(VALU_DEP_1)
	v_fma_f64 v[56:57], -v[54:55], v[54:55], v[46:47]
	v_fmac_f64_e32 v[54:55], v[56:57], v[48:49]
	s_delay_alu instid0(VALU_DEP_1) | instskip(NEXT) | instid1(VALU_DEP_1)
	v_ldexp_f64 v[48:49], v[54:55], v8
	v_dual_cndmask_b32 v47, v49, v47 :: v_dual_cndmask_b32 v46, v48, v46
	s_delay_alu instid0(VALU_DEP_1) | instskip(NEXT) | instid1(VALU_DEP_1)
	v_div_scale_f64 v[48:49], null, v[46:47], v[46:47], 1.0
	v_rcp_f64_e32 v[54:55], v[48:49]
	v_nop
	s_delay_alu instid0(TRANS32_DEP_1) | instskip(NEXT) | instid1(VALU_DEP_1)
	v_fma_f64 v[56:57], -v[48:49], v[54:55], 1.0
	v_fmac_f64_e32 v[54:55], v[54:55], v[56:57]
	s_delay_alu instid0(VALU_DEP_1) | instskip(NEXT) | instid1(VALU_DEP_1)
	v_fma_f64 v[56:57], -v[48:49], v[54:55], 1.0
	v_fmac_f64_e32 v[54:55], v[54:55], v[56:57]
	v_div_scale_f64 v[56:57], vcc_lo, 1.0, v[46:47], 1.0
	s_delay_alu instid0(VALU_DEP_1) | instskip(NEXT) | instid1(VALU_DEP_1)
	v_mul_f64_e32 v[58:59], v[56:57], v[54:55]
	v_fma_f64 v[48:49], -v[48:49], v[58:59], v[56:57]
	s_delay_alu instid0(VALU_DEP_1) | instskip(NEXT) | instid1(VALU_DEP_1)
	v_div_fmas_f64 v[48:49], v[48:49], v[54:55], v[58:59]
	v_div_fixup_f64 v[46:47], v[48:49], v[46:47], 1.0
	s_delay_alu instid0(VALU_DEP_1)
	v_mul_f64_e32 v[56:57], v[44:45], v[46:47]
                                        ; implicit-def: $vgpr44_vgpr45
.LBB21_183:                             ;   in Loop: Header=BB21_164 Depth=3
	s_and_not1_saveexec_b32 s92, s92
	s_cbranch_execz .LBB21_185
; %bb.184:                              ;   in Loop: Header=BB21_164 Depth=3
	v_div_scale_f64 v[46:47], null, v[52:53], v[52:53], -v[44:45]
	v_div_scale_f64 v[56:57], vcc_lo, -v[44:45], v[52:53], -v[44:45]
	s_delay_alu instid0(VALU_DEP_2) | instskip(SKIP_1) | instid1(TRANS32_DEP_1)
	v_rcp_f64_e32 v[48:49], v[46:47]
	v_nop
	v_fma_f64 v[54:55], -v[46:47], v[48:49], 1.0
	s_delay_alu instid0(VALU_DEP_1) | instskip(NEXT) | instid1(VALU_DEP_1)
	v_fmac_f64_e32 v[48:49], v[48:49], v[54:55]
	v_fma_f64 v[54:55], -v[46:47], v[48:49], 1.0
	s_delay_alu instid0(VALU_DEP_1) | instskip(NEXT) | instid1(VALU_DEP_1)
	v_fmac_f64_e32 v[48:49], v[48:49], v[54:55]
	v_mul_f64_e32 v[54:55], v[56:57], v[48:49]
	s_delay_alu instid0(VALU_DEP_1) | instskip(NEXT) | instid1(VALU_DEP_1)
	v_fma_f64 v[46:47], -v[46:47], v[54:55], v[56:57]
	v_div_fmas_f64 v[46:47], v[46:47], v[48:49], v[54:55]
	s_delay_alu instid0(VALU_DEP_1) | instskip(NEXT) | instid1(VALU_DEP_1)
	v_div_fixup_f64 v[44:45], v[46:47], v[52:53], -v[44:45]
	v_fma_f64 v[46:47], v[44:45], v[44:45], 1.0
	s_delay_alu instid0(VALU_DEP_1) | instskip(SKIP_1) | instid1(VALU_DEP_1)
	v_cmp_gt_f64_e32 vcc_lo, 0x10000000, v[46:47]
	v_cndmask_b32_e64 v8, 0, 0x100, vcc_lo
	v_ldexp_f64 v[46:47], v[46:47], v8
	v_cndmask_b32_e64 v8, 0, 0xffffff80, vcc_lo
	s_delay_alu instid0(VALU_DEP_2) | instskip(SKIP_1) | instid1(TRANS32_DEP_1)
	v_rsq_f64_e32 v[48:49], v[46:47]
	v_cmp_class_f64_e64 vcc_lo, v[46:47], 0x260
	v_mul_f64_e32 v[54:55], v[46:47], v[48:49]
	v_mul_f64_e32 v[48:49], 0.5, v[48:49]
	s_delay_alu instid0(VALU_DEP_1) | instskip(NEXT) | instid1(VALU_DEP_1)
	v_fma_f64 v[56:57], -v[48:49], v[54:55], 0.5
	v_fmac_f64_e32 v[54:55], v[54:55], v[56:57]
	v_fmac_f64_e32 v[48:49], v[48:49], v[56:57]
	s_delay_alu instid0(VALU_DEP_2) | instskip(NEXT) | instid1(VALU_DEP_1)
	v_fma_f64 v[56:57], -v[54:55], v[54:55], v[46:47]
	v_fmac_f64_e32 v[54:55], v[56:57], v[48:49]
	s_delay_alu instid0(VALU_DEP_1) | instskip(NEXT) | instid1(VALU_DEP_1)
	v_fma_f64 v[56:57], -v[54:55], v[54:55], v[46:47]
	v_fmac_f64_e32 v[54:55], v[56:57], v[48:49]
	s_delay_alu instid0(VALU_DEP_1) | instskip(NEXT) | instid1(VALU_DEP_1)
	v_ldexp_f64 v[48:49], v[54:55], v8
	v_dual_cndmask_b32 v47, v49, v47 :: v_dual_cndmask_b32 v46, v48, v46
	s_delay_alu instid0(VALU_DEP_1) | instskip(NEXT) | instid1(VALU_DEP_1)
	v_div_scale_f64 v[48:49], null, v[46:47], v[46:47], 1.0
	v_rcp_f64_e32 v[54:55], v[48:49]
	v_nop
	s_delay_alu instid0(TRANS32_DEP_1) | instskip(NEXT) | instid1(VALU_DEP_1)
	v_fma_f64 v[56:57], -v[48:49], v[54:55], 1.0
	v_fmac_f64_e32 v[54:55], v[54:55], v[56:57]
	s_delay_alu instid0(VALU_DEP_1) | instskip(NEXT) | instid1(VALU_DEP_1)
	v_fma_f64 v[56:57], -v[48:49], v[54:55], 1.0
	v_fmac_f64_e32 v[54:55], v[54:55], v[56:57]
	v_div_scale_f64 v[56:57], vcc_lo, 1.0, v[46:47], 1.0
	s_delay_alu instid0(VALU_DEP_1) | instskip(NEXT) | instid1(VALU_DEP_1)
	v_mul_f64_e32 v[58:59], v[56:57], v[54:55]
	v_fma_f64 v[48:49], -v[48:49], v[58:59], v[56:57]
	s_delay_alu instid0(VALU_DEP_1) | instskip(NEXT) | instid1(VALU_DEP_1)
	v_div_fmas_f64 v[48:49], v[48:49], v[54:55], v[58:59]
	v_div_fixup_f64 v[56:57], v[48:49], v[46:47], 1.0
	s_delay_alu instid0(VALU_DEP_1)
	v_mul_f64_e32 v[46:47], v[44:45], v[56:57]
.LBB21_185:                             ;   in Loop: Header=BB21_164 Depth=3
	s_or_b32 exec_lo, exec_lo, s92
.LBB21_186:                             ;   in Loop: Header=BB21_164 Depth=3
	s_delay_alu instid0(SALU_CYCLE_1)
	s_or_b32 exec_lo, exec_lo, s91
.LBB21_187:                             ;   in Loop: Header=BB21_164 Depth=3
	s_delay_alu instid0(SALU_CYCLE_1) | instskip(SKIP_1) | instid1(VALU_DEP_2)
	s_or_b32 exec_lo, exec_lo, s90
	v_lshl_add_u64 v[54:55], v[2:3], 3, s[64:65]
	v_add_f64_e32 v[48:49], v[46:47], v[46:47]
	s_mov_b32 s98, exec_lo
	global_load_b64 v[44:45], v[54:55], off offset:-8
	s_wait_loadcnt 0x0
	v_add_f64_e64 v[44:45], v[44:45], -v[50:51]
	s_delay_alu instid0(VALU_DEP_1) | instskip(NEXT) | instid1(VALU_DEP_1)
	v_mul_f64_e32 v[44:45], v[56:57], v[44:45]
	v_fma_f64 v[44:45], v[52:53], v[48:49], -v[44:45]
	s_delay_alu instid0(VALU_DEP_1) | instskip(SKIP_4) | instid1(VALU_DEP_2)
	v_mul_f64_e64 v[48:49], v[44:45], -v[56:57]
	v_fma_f64 v[58:59], v[44:45], -v[56:57], v[50:51]
	v_fma_f64 v[44:45], v[46:47], v[44:45], -v[52:53]
	v_lshl_add_u64 v[52:53], v[2:3], 3, s[70:71]
	v_add_nc_u32_e32 v50, -1, v2
	v_add_nc_u64_e32 v[60:61], -8, v[52:53]
	s_delay_alu instid0(VALU_DEP_1)
	v_lshl_add_u64 v[60:61], s[60:61], 3, v[60:61]
	ds_store_b64 v9, v[48:49]
	global_store_b64 v[54:55], v[58:59], off
	s_clause 0x1
	global_store_b64 v[52:53], v[46:47], off offset:-8
	global_store_b64 v[60:61], v[56:57], off offset:-8
	s_wait_xcnt 0x0
	v_cmpx_gt_i32_e64 v50, v40
	s_cbranch_execz .LBB21_204
; %bb.188:                              ;   in Loop: Header=BB21_164 Depth=3
	v_ashrrev_i32_e32 v51, 31, v50
	v_xor_b32_e32 v57, 0x80000000, v57
	s_mov_b32 s100, -1
	s_mov_b32 s99, 0
	s_mov_b64 s[90:91], s[80:81]
	v_lshlrev_b64_e32 v[50:51], 3, v[50:51]
	s_mov_b64 s[92:93], s[64:65]
	s_mov_b64 s[94:95], s[78:79]
	;; [unrolled: 1-line block ×3, first 2 shown]
	s_branch .LBB21_190
.LBB21_189:                             ;   in Loop: Header=BB21_190 Depth=4
	v_add_nc_u64_e32 v[62:63], s[92:93], v[50:51]
	s_add_co_i32 s100, s100, -1
	v_mul_f64_e32 v[46:47], v[46:47], v[52:53]
	v_add_f64_e32 v[52:53], v[60:61], v[60:61]
	v_add_nc_u64_e32 v[66:67], s[96:97], v[50:51]
	s_add_nc_u64 s[96:97], s[96:97], -8
	s_add_nc_u64 s[92:93], s[92:93], -8
	global_load_b128 v[54:57], v[62:63], off offset:-8
	s_add_nc_u64 s[90:91], s[90:91], -8
	v_add_nc_u32_e32 v3, s100, v2
	s_delay_alu instid0(VALU_DEP_1) | instskip(SKIP_4) | instid1(VALU_DEP_2)
	v_cmp_le_i32_e32 vcc_lo, v3, v40
	s_or_b32 s99, vcc_lo, s99
	s_wait_loadcnt 0x0
	v_dual_add_f64 v[44:45], v[56:57], -v[48:49] :: v_dual_mov_b32 v56, v58
	v_xor_b32_e32 v57, 0x80000000, v59
	v_add_f64_e64 v[48:49], v[54:55], -v[44:45]
	s_delay_alu instid0(VALU_DEP_1) | instskip(NEXT) | instid1(VALU_DEP_1)
	v_mul_f64_e32 v[48:49], v[58:59], v[48:49]
	v_fma_f64 v[52:53], v[46:47], v[52:53], -v[48:49]
	s_delay_alu instid0(VALU_DEP_1)
	v_fma_f64 v[54:55], v[52:53], -v[58:59], v[44:45]
	v_mul_f64_e64 v[48:49], v[52:53], -v[58:59]
	v_fma_f64 v[44:45], v[60:61], v[52:53], -v[46:47]
	v_mov_b64_e32 v[46:47], v[60:61]
	v_add_nc_u64_e32 v[52:53], s[94:95], v[50:51]
	s_add_nc_u64 s[94:95], s[94:95], -8
	global_store_b64 v[62:63], v[54:55], off
	global_store_b64 v[52:53], v[60:61], off
	;; [unrolled: 1-line block ×3, first 2 shown]
	s_wait_xcnt 0x0
	s_and_not1_b32 exec_lo, exec_lo, s99
	s_cbranch_execz .LBB21_203
.LBB21_190:                             ;   Parent Loop BB21_7 Depth=1
                                        ;     Parent Loop BB21_20 Depth=2
                                        ;       Parent Loop BB21_164 Depth=3
                                        ; =>      This Inner Loop Header: Depth=4
	s_delay_alu instid0(VALU_DEP_1)
	v_add_nc_u64_e32 v[54:55], s[90:91], v[50:51]
	v_mov_b64_e32 v[58:59], 0
	v_mov_b64_e32 v[60:61], 1.0
	s_mov_b32 s101, exec_lo
	global_load_b64 v[52:53], v[54:55], off
	s_wait_loadcnt 0x0
	v_mul_f64_e32 v[56:57], v[56:57], v[52:53]
	s_wait_xcnt 0x0
	s_delay_alu instid0(VALU_DEP_1)
	v_cmpx_neq_f64_e32 0, v[56:57]
	s_cbranch_execz .LBB21_200
; %bb.191:                              ;   in Loop: Header=BB21_190 Depth=4
	v_xor_b32_e32 v63, 0x80000000, v57
	v_mov_b32_e32 v62, v56
	s_mov_b32 s102, exec_lo
                                        ; implicit-def: $vgpr58_vgpr59
                                        ; implicit-def: $vgpr60_vgpr61
	v_cmpx_neq_f64_e32 0, v[44:45]
	s_xor_b32 s102, exec_lo, s102
	s_cbranch_execz .LBB21_197
; %bb.192:                              ;   in Loop: Header=BB21_190 Depth=4
	v_cmp_ngt_f64_e64 s103, |v[56:57]|, |v[44:45]|
                                        ; implicit-def: $vgpr58_vgpr59
                                        ; implicit-def: $vgpr60_vgpr61
	s_and_saveexec_b32 s104, s103
	s_delay_alu instid0(SALU_CYCLE_1)
	s_xor_b32 s103, exec_lo, s104
	s_cbranch_execz .LBB21_194
; %bb.193:                              ;   in Loop: Header=BB21_190 Depth=4
	v_div_scale_f64 v[58:59], null, v[44:45], v[44:45], -v[56:57]
	v_div_scale_f64 v[66:67], vcc_lo, -v[56:57], v[44:45], -v[56:57]
	s_delay_alu instid0(VALU_DEP_2) | instskip(SKIP_1) | instid1(TRANS32_DEP_1)
	v_rcp_f64_e32 v[60:61], v[58:59]
	v_nop
	v_fma_f64 v[62:63], -v[58:59], v[60:61], 1.0
	s_delay_alu instid0(VALU_DEP_1) | instskip(NEXT) | instid1(VALU_DEP_1)
	v_fmac_f64_e32 v[60:61], v[60:61], v[62:63]
	v_fma_f64 v[62:63], -v[58:59], v[60:61], 1.0
	s_delay_alu instid0(VALU_DEP_1) | instskip(NEXT) | instid1(VALU_DEP_1)
	v_fmac_f64_e32 v[60:61], v[60:61], v[62:63]
	v_mul_f64_e32 v[62:63], v[66:67], v[60:61]
	s_delay_alu instid0(VALU_DEP_1) | instskip(NEXT) | instid1(VALU_DEP_1)
	v_fma_f64 v[58:59], -v[58:59], v[62:63], v[66:67]
	v_div_fmas_f64 v[58:59], v[58:59], v[60:61], v[62:63]
	s_delay_alu instid0(VALU_DEP_1) | instskip(NEXT) | instid1(VALU_DEP_1)
	v_div_fixup_f64 v[58:59], v[58:59], v[44:45], -v[56:57]
	v_fma_f64 v[60:61], v[58:59], v[58:59], 1.0
	s_delay_alu instid0(VALU_DEP_1) | instskip(SKIP_1) | instid1(VALU_DEP_1)
	v_cmp_gt_f64_e32 vcc_lo, 0x10000000, v[60:61]
	v_cndmask_b32_e64 v3, 0, 0x100, vcc_lo
	v_ldexp_f64 v[60:61], v[60:61], v3
	v_cndmask_b32_e64 v3, 0, 0xffffff80, vcc_lo
	s_delay_alu instid0(VALU_DEP_2) | instskip(SKIP_1) | instid1(TRANS32_DEP_1)
	v_rsq_f64_e32 v[62:63], v[60:61]
	v_cmp_class_f64_e64 vcc_lo, v[60:61], 0x260
	v_mul_f64_e32 v[66:67], v[60:61], v[62:63]
	v_mul_f64_e32 v[62:63], 0.5, v[62:63]
	s_delay_alu instid0(VALU_DEP_1) | instskip(NEXT) | instid1(VALU_DEP_1)
	v_fma_f64 v[68:69], -v[62:63], v[66:67], 0.5
	v_fmac_f64_e32 v[66:67], v[66:67], v[68:69]
	v_fmac_f64_e32 v[62:63], v[62:63], v[68:69]
	s_delay_alu instid0(VALU_DEP_2) | instskip(NEXT) | instid1(VALU_DEP_1)
	v_fma_f64 v[68:69], -v[66:67], v[66:67], v[60:61]
	v_fmac_f64_e32 v[66:67], v[68:69], v[62:63]
	s_delay_alu instid0(VALU_DEP_1) | instskip(NEXT) | instid1(VALU_DEP_1)
	v_fma_f64 v[68:69], -v[66:67], v[66:67], v[60:61]
	v_fmac_f64_e32 v[66:67], v[68:69], v[62:63]
	s_delay_alu instid0(VALU_DEP_1) | instskip(NEXT) | instid1(VALU_DEP_1)
	v_ldexp_f64 v[62:63], v[66:67], v3
	v_dual_cndmask_b32 v61, v63, v61 :: v_dual_cndmask_b32 v60, v62, v60
	s_delay_alu instid0(VALU_DEP_1) | instskip(NEXT) | instid1(VALU_DEP_1)
	v_div_scale_f64 v[62:63], null, v[60:61], v[60:61], 1.0
	v_rcp_f64_e32 v[66:67], v[62:63]
	v_nop
	s_delay_alu instid0(TRANS32_DEP_1) | instskip(NEXT) | instid1(VALU_DEP_1)
	v_fma_f64 v[68:69], -v[62:63], v[66:67], 1.0
	v_fmac_f64_e32 v[66:67], v[66:67], v[68:69]
	s_delay_alu instid0(VALU_DEP_1) | instskip(NEXT) | instid1(VALU_DEP_1)
	v_fma_f64 v[68:69], -v[62:63], v[66:67], 1.0
	v_fmac_f64_e32 v[66:67], v[66:67], v[68:69]
	v_div_scale_f64 v[68:69], vcc_lo, 1.0, v[60:61], 1.0
	s_delay_alu instid0(VALU_DEP_1) | instskip(NEXT) | instid1(VALU_DEP_1)
	v_mul_f64_e32 v[70:71], v[68:69], v[66:67]
	v_fma_f64 v[62:63], -v[62:63], v[70:71], v[68:69]
	s_delay_alu instid0(VALU_DEP_1) | instskip(NEXT) | instid1(VALU_DEP_1)
	v_div_fmas_f64 v[62:63], v[62:63], v[66:67], v[70:71]
	v_div_fixup_f64 v[60:61], v[62:63], v[60:61], 1.0
	s_delay_alu instid0(VALU_DEP_1)
	v_mul_f64_e32 v[58:59], v[58:59], v[60:61]
.LBB21_194:                             ;   in Loop: Header=BB21_190 Depth=4
	s_and_not1_saveexec_b32 s103, s103
	s_cbranch_execz .LBB21_196
; %bb.195:                              ;   in Loop: Header=BB21_190 Depth=4
	v_div_scale_f64 v[58:59], null, v[56:57], v[56:57], -v[44:45]
	v_div_scale_f64 v[66:67], vcc_lo, -v[44:45], v[56:57], -v[44:45]
	s_delay_alu instid0(VALU_DEP_2) | instskip(SKIP_1) | instid1(TRANS32_DEP_1)
	v_rcp_f64_e32 v[60:61], v[58:59]
	v_nop
	v_fma_f64 v[62:63], -v[58:59], v[60:61], 1.0
	s_delay_alu instid0(VALU_DEP_1) | instskip(NEXT) | instid1(VALU_DEP_1)
	v_fmac_f64_e32 v[60:61], v[60:61], v[62:63]
	v_fma_f64 v[62:63], -v[58:59], v[60:61], 1.0
	s_delay_alu instid0(VALU_DEP_1) | instskip(NEXT) | instid1(VALU_DEP_1)
	v_fmac_f64_e32 v[60:61], v[60:61], v[62:63]
	v_mul_f64_e32 v[62:63], v[66:67], v[60:61]
	s_delay_alu instid0(VALU_DEP_1) | instskip(NEXT) | instid1(VALU_DEP_1)
	v_fma_f64 v[58:59], -v[58:59], v[62:63], v[66:67]
	v_div_fmas_f64 v[58:59], v[58:59], v[60:61], v[62:63]
	s_delay_alu instid0(VALU_DEP_1) | instskip(NEXT) | instid1(VALU_DEP_1)
	v_div_fixup_f64 v[60:61], v[58:59], v[56:57], -v[44:45]
	v_fma_f64 v[58:59], v[60:61], v[60:61], 1.0
	s_delay_alu instid0(VALU_DEP_1) | instskip(SKIP_1) | instid1(VALU_DEP_1)
	v_cmp_gt_f64_e32 vcc_lo, 0x10000000, v[58:59]
	v_cndmask_b32_e64 v3, 0, 0x100, vcc_lo
	v_ldexp_f64 v[58:59], v[58:59], v3
	v_cndmask_b32_e64 v3, 0, 0xffffff80, vcc_lo
	s_delay_alu instid0(VALU_DEP_2) | instskip(SKIP_1) | instid1(TRANS32_DEP_1)
	v_rsq_f64_e32 v[62:63], v[58:59]
	v_cmp_class_f64_e64 vcc_lo, v[58:59], 0x260
	v_mul_f64_e32 v[66:67], v[58:59], v[62:63]
	v_mul_f64_e32 v[62:63], 0.5, v[62:63]
	s_delay_alu instid0(VALU_DEP_1) | instskip(NEXT) | instid1(VALU_DEP_1)
	v_fma_f64 v[68:69], -v[62:63], v[66:67], 0.5
	v_fmac_f64_e32 v[66:67], v[66:67], v[68:69]
	v_fmac_f64_e32 v[62:63], v[62:63], v[68:69]
	s_delay_alu instid0(VALU_DEP_2) | instskip(NEXT) | instid1(VALU_DEP_1)
	v_fma_f64 v[68:69], -v[66:67], v[66:67], v[58:59]
	v_fmac_f64_e32 v[66:67], v[68:69], v[62:63]
	s_delay_alu instid0(VALU_DEP_1) | instskip(NEXT) | instid1(VALU_DEP_1)
	v_fma_f64 v[68:69], -v[66:67], v[66:67], v[58:59]
	v_fmac_f64_e32 v[66:67], v[68:69], v[62:63]
	s_delay_alu instid0(VALU_DEP_1) | instskip(NEXT) | instid1(VALU_DEP_1)
	v_ldexp_f64 v[62:63], v[66:67], v3
	v_dual_cndmask_b32 v59, v63, v59 :: v_dual_cndmask_b32 v58, v62, v58
	s_delay_alu instid0(VALU_DEP_1) | instskip(NEXT) | instid1(VALU_DEP_1)
	v_div_scale_f64 v[62:63], null, v[58:59], v[58:59], 1.0
	v_rcp_f64_e32 v[66:67], v[62:63]
	v_nop
	s_delay_alu instid0(TRANS32_DEP_1) | instskip(NEXT) | instid1(VALU_DEP_1)
	v_fma_f64 v[68:69], -v[62:63], v[66:67], 1.0
	v_fmac_f64_e32 v[66:67], v[66:67], v[68:69]
	s_delay_alu instid0(VALU_DEP_1) | instskip(NEXT) | instid1(VALU_DEP_1)
	v_fma_f64 v[68:69], -v[62:63], v[66:67], 1.0
	v_fmac_f64_e32 v[66:67], v[66:67], v[68:69]
	v_div_scale_f64 v[68:69], vcc_lo, 1.0, v[58:59], 1.0
	s_delay_alu instid0(VALU_DEP_1) | instskip(NEXT) | instid1(VALU_DEP_1)
	v_mul_f64_e32 v[70:71], v[68:69], v[66:67]
	v_fma_f64 v[62:63], -v[62:63], v[70:71], v[68:69]
	s_delay_alu instid0(VALU_DEP_1) | instskip(NEXT) | instid1(VALU_DEP_1)
	v_div_fmas_f64 v[62:63], v[62:63], v[66:67], v[70:71]
	v_div_fixup_f64 v[58:59], v[62:63], v[58:59], 1.0
	s_delay_alu instid0(VALU_DEP_1)
	v_mul_f64_e32 v[60:61], v[60:61], v[58:59]
.LBB21_196:                             ;   in Loop: Header=BB21_190 Depth=4
	s_or_b32 exec_lo, exec_lo, s103
	s_delay_alu instid0(VALU_DEP_1) | instskip(NEXT) | instid1(VALU_DEP_1)
	v_mul_f64_e32 v[56:57], v[56:57], v[58:59]
	v_fma_f64 v[62:63], v[44:45], v[60:61], -v[56:57]
.LBB21_197:                             ;   in Loop: Header=BB21_190 Depth=4
	s_and_not1_saveexec_b32 s102, s102
; %bb.198:                              ;   in Loop: Header=BB21_190 Depth=4
	v_mov_b64_e32 v[60:61], 0
	v_mov_b64_e32 v[58:59], 1.0
; %bb.199:                              ;   in Loop: Header=BB21_190 Depth=4
	s_or_b32 exec_lo, exec_lo, s102
	s_delay_alu instid0(VALU_DEP_3)
	v_mov_b64_e32 v[44:45], v[62:63]
.LBB21_200:                             ;   in Loop: Header=BB21_190 Depth=4
	s_or_b32 exec_lo, exec_lo, s101
	s_cmp_eq_u32 s100, 0
	s_cbranch_scc1 .LBB21_189
; %bb.201:                              ;   in Loop: Header=BB21_190 Depth=4
	global_store_b64 v[54:55], v[44:45], off offset:8
	s_branch .LBB21_189
.LBB21_202:                             ;   in Loop: Header=BB21_164 Depth=3
	ds_store_2addr_b32 v9, v2, v40 offset0:5 offset1:7
	s_cbranch_execz .LBB21_175
	s_branch .LBB21_176
.LBB21_203:                             ;   in Loop: Header=BB21_164 Depth=3
	s_or_b32 exec_lo, exec_lo, s99
	ds_store_b64 v9, v[48:49]
.LBB21_204:                             ;   in Loop: Header=BB21_164 Depth=3
	s_or_b32 exec_lo, exec_lo, s98
	global_load_b64 v[52:53], v[42:43], off
.LBB21_205:                             ;   in Loop: Header=BB21_164 Depth=3
	s_wait_xcnt 0x0
	s_or_b32 exec_lo, exec_lo, s57
	s_wait_loadcnt 0x0
	v_add_f64_e64 v[2:3], v[52:53], -v[48:49]
                                        ; implicit-def: $vgpr40
                                        ; implicit-def: $vgpr52_vgpr53
	global_store_b64 v[42:43], v[2:3], off
	global_store_b64 v[4:5], v[44:45], off
                                        ; implicit-def: $vgpr44_vgpr45
                                        ; implicit-def: $vgpr42_vgpr43
.LBB21_206:                             ;   in Loop: Header=BB21_164 Depth=3
	s_wait_xcnt 0x0
	s_and_not1_saveexec_b32 s57, s3
	s_cbranch_execz .LBB21_243
; %bb.207:                              ;   in Loop: Header=BB21_164 Depth=3
	v_lshl_add_u64 v[46:47], v[44:45], 3, s[66:67]
                                        ; implicit-def: $vgpr56_vgpr57
	global_load_b64 v[2:3], v[42:43], off offset:8
	global_load_b64 v[54:55], v[46:47], off
	s_wait_loadcnt 0x1
	v_add_f64_e64 v[50:51], v[52:53], -v[2:3]
	s_wait_loadcnt 0x0
	v_add_f64_e32 v[48:49], v[54:55], v[54:55]
	s_delay_alu instid0(VALU_DEP_1) | instskip(SKIP_2) | instid1(SALU_CYCLE_1)
	v_cmp_ngt_f64_e64 s3, |v[50:51]|, |v[48:49]|
	s_wait_xcnt 0x0
	s_and_saveexec_b32 s90, s3
	s_xor_b32 s3, exec_lo, s90
	s_cbranch_execz .LBB21_213
; %bb.208:                              ;   in Loop: Header=BB21_164 Depth=3
	v_cmp_nlt_f64_e64 s90, |v[50:51]|, |v[48:49]|
                                        ; implicit-def: $vgpr56_vgpr57
	s_and_saveexec_b32 s91, s90
	s_delay_alu instid0(SALU_CYCLE_1)
	s_xor_b32 s90, exec_lo, s91
; %bb.209:                              ;   in Loop: Header=BB21_164 Depth=3
	v_mul_f64_e64 v[56:57], |v[48:49]|, s[44:45]
; %bb.210:                              ;   in Loop: Header=BB21_164 Depth=3
	s_and_not1_saveexec_b32 s90, s90
	s_cbranch_execz .LBB21_212
; %bb.211:                              ;   in Loop: Header=BB21_164 Depth=3
	v_and_b32_e32 v5, 0x7fffffff, v51
	v_dual_mov_b32 v4, v50 :: v_dual_mov_b32 v56, v48
	v_and_b32_e32 v57, 0x7fffffff, v49
	s_delay_alu instid0(VALU_DEP_1) | instskip(SKIP_1) | instid1(VALU_DEP_2)
	v_div_scale_f64 v[58:59], null, v[56:57], v[56:57], v[4:5]
	v_div_scale_f64 v[4:5], vcc_lo, v[4:5], v[56:57], v[4:5]
	v_rcp_f64_e32 v[60:61], v[58:59]
	v_nop
	s_delay_alu instid0(TRANS32_DEP_1) | instskip(NEXT) | instid1(VALU_DEP_1)
	v_fma_f64 v[62:63], -v[58:59], v[60:61], 1.0
	v_fmac_f64_e32 v[60:61], v[60:61], v[62:63]
	s_delay_alu instid0(VALU_DEP_1) | instskip(NEXT) | instid1(VALU_DEP_1)
	v_fma_f64 v[62:63], -v[58:59], v[60:61], 1.0
	v_fmac_f64_e32 v[60:61], v[60:61], v[62:63]
	s_delay_alu instid0(VALU_DEP_1) | instskip(NEXT) | instid1(VALU_DEP_1)
	v_mul_f64_e32 v[56:57], v[4:5], v[60:61]
	v_fma_f64 v[4:5], -v[58:59], v[56:57], v[4:5]
	s_delay_alu instid0(VALU_DEP_1) | instskip(NEXT) | instid1(VALU_DEP_1)
	v_div_fmas_f64 v[4:5], v[4:5], v[60:61], v[56:57]
	v_div_fixup_f64 v[4:5], v[4:5], |v[48:49]|, |v[50:51]|
	s_delay_alu instid0(VALU_DEP_1) | instskip(NEXT) | instid1(VALU_DEP_1)
	v_fma_f64 v[4:5], v[4:5], v[4:5], 1.0
	v_cmp_gt_f64_e32 vcc_lo, 0x10000000, v[4:5]
	v_cndmask_b32_e64 v8, 0, 0x100, vcc_lo
	s_delay_alu instid0(VALU_DEP_1) | instskip(SKIP_1) | instid1(VALU_DEP_2)
	v_ldexp_f64 v[4:5], v[4:5], v8
	v_cndmask_b32_e64 v8, 0, 0xffffff80, vcc_lo
	v_rsq_f64_e32 v[56:57], v[4:5]
	v_cmp_class_f64_e64 vcc_lo, v[4:5], 0x260
	s_delay_alu instid0(TRANS32_DEP_1) | instskip(SKIP_1) | instid1(VALU_DEP_1)
	v_mul_f64_e32 v[58:59], v[4:5], v[56:57]
	v_mul_f64_e32 v[56:57], 0.5, v[56:57]
	v_fma_f64 v[60:61], -v[56:57], v[58:59], 0.5
	s_delay_alu instid0(VALU_DEP_1) | instskip(SKIP_1) | instid1(VALU_DEP_2)
	v_fmac_f64_e32 v[58:59], v[58:59], v[60:61]
	v_fmac_f64_e32 v[56:57], v[56:57], v[60:61]
	v_fma_f64 v[60:61], -v[58:59], v[58:59], v[4:5]
	s_delay_alu instid0(VALU_DEP_1) | instskip(NEXT) | instid1(VALU_DEP_1)
	v_fmac_f64_e32 v[58:59], v[60:61], v[56:57]
	v_fma_f64 v[60:61], -v[58:59], v[58:59], v[4:5]
	s_delay_alu instid0(VALU_DEP_1) | instskip(NEXT) | instid1(VALU_DEP_1)
	v_fmac_f64_e32 v[58:59], v[60:61], v[56:57]
	v_ldexp_f64 v[56:57], v[58:59], v8
	s_delay_alu instid0(VALU_DEP_1) | instskip(NEXT) | instid1(VALU_DEP_1)
	v_dual_cndmask_b32 v5, v57, v5 :: v_dual_cndmask_b32 v4, v56, v4
	v_mul_f64_e64 v[56:57], |v[48:49]|, v[4:5]
.LBB21_212:                             ;   in Loop: Header=BB21_164 Depth=3
	s_or_b32 exec_lo, exec_lo, s90
.LBB21_213:                             ;   in Loop: Header=BB21_164 Depth=3
	s_and_not1_saveexec_b32 s3, s3
	s_cbranch_execz .LBB21_215
; %bb.214:                              ;   in Loop: Header=BB21_164 Depth=3
	v_and_b32_e32 v5, 0x7fffffff, v49
	v_dual_mov_b32 v4, v48 :: v_dual_mov_b32 v56, v50
	v_and_b32_e32 v57, 0x7fffffff, v51
	s_delay_alu instid0(VALU_DEP_1) | instskip(SKIP_1) | instid1(VALU_DEP_2)
	v_div_scale_f64 v[58:59], null, v[56:57], v[56:57], v[4:5]
	v_div_scale_f64 v[4:5], vcc_lo, v[4:5], v[56:57], v[4:5]
	v_rcp_f64_e32 v[60:61], v[58:59]
	v_nop
	s_delay_alu instid0(TRANS32_DEP_1) | instskip(NEXT) | instid1(VALU_DEP_1)
	v_fma_f64 v[62:63], -v[58:59], v[60:61], 1.0
	v_fmac_f64_e32 v[60:61], v[60:61], v[62:63]
	s_delay_alu instid0(VALU_DEP_1) | instskip(NEXT) | instid1(VALU_DEP_1)
	v_fma_f64 v[62:63], -v[58:59], v[60:61], 1.0
	v_fmac_f64_e32 v[60:61], v[60:61], v[62:63]
	s_delay_alu instid0(VALU_DEP_1) | instskip(NEXT) | instid1(VALU_DEP_1)
	v_mul_f64_e32 v[56:57], v[4:5], v[60:61]
	v_fma_f64 v[4:5], -v[58:59], v[56:57], v[4:5]
	s_delay_alu instid0(VALU_DEP_1) | instskip(NEXT) | instid1(VALU_DEP_1)
	v_div_fmas_f64 v[4:5], v[4:5], v[60:61], v[56:57]
	v_div_fixup_f64 v[4:5], v[4:5], |v[50:51]|, |v[48:49]|
	s_delay_alu instid0(VALU_DEP_1) | instskip(NEXT) | instid1(VALU_DEP_1)
	v_fma_f64 v[4:5], v[4:5], v[4:5], 1.0
	v_cmp_gt_f64_e32 vcc_lo, 0x10000000, v[4:5]
	v_cndmask_b32_e64 v8, 0, 0x100, vcc_lo
	s_delay_alu instid0(VALU_DEP_1) | instskip(SKIP_1) | instid1(VALU_DEP_2)
	v_ldexp_f64 v[4:5], v[4:5], v8
	v_cndmask_b32_e64 v8, 0, 0xffffff80, vcc_lo
	v_rsq_f64_e32 v[56:57], v[4:5]
	v_cmp_class_f64_e64 vcc_lo, v[4:5], 0x260
	s_delay_alu instid0(TRANS32_DEP_1) | instskip(SKIP_1) | instid1(VALU_DEP_1)
	v_mul_f64_e32 v[58:59], v[4:5], v[56:57]
	v_mul_f64_e32 v[56:57], 0.5, v[56:57]
	v_fma_f64 v[60:61], -v[56:57], v[58:59], 0.5
	s_delay_alu instid0(VALU_DEP_1) | instskip(SKIP_1) | instid1(VALU_DEP_2)
	v_fmac_f64_e32 v[58:59], v[58:59], v[60:61]
	v_fmac_f64_e32 v[56:57], v[56:57], v[60:61]
	v_fma_f64 v[60:61], -v[58:59], v[58:59], v[4:5]
	s_delay_alu instid0(VALU_DEP_1) | instskip(NEXT) | instid1(VALU_DEP_1)
	v_fmac_f64_e32 v[58:59], v[60:61], v[56:57]
	v_fma_f64 v[60:61], -v[58:59], v[58:59], v[4:5]
	s_delay_alu instid0(VALU_DEP_1) | instskip(NEXT) | instid1(VALU_DEP_1)
	v_fmac_f64_e32 v[58:59], v[60:61], v[56:57]
	v_ldexp_f64 v[56:57], v[58:59], v8
	s_delay_alu instid0(VALU_DEP_1) | instskip(NEXT) | instid1(VALU_DEP_1)
	v_dual_cndmask_b32 v5, v57, v5 :: v_dual_cndmask_b32 v4, v56, v4
	v_mul_f64_e64 v[56:57], |v[50:51]|, v[4:5]
.LBB21_215:                             ;   in Loop: Header=BB21_164 Depth=3
	s_or_b32 exec_lo, exec_lo, s3
	v_cmp_gt_f64_e64 vcc_lo, |v[52:53]|, |v[2:3]|
	v_add_f64_e32 v[60:61], v[52:53], v[2:3]
	s_mov_b32 s90, exec_lo
	v_dual_cndmask_b32 v59, v53, v3 :: v_dual_cndmask_b32 v58, v52, v2
	v_dual_cndmask_b32 v53, v3, v53 :: v_dual_cndmask_b32 v52, v2, v52
                                        ; implicit-def: $vgpr4_vgpr5
	s_delay_alu instid0(VALU_DEP_3)
	v_cmpx_ngt_f64_e32 0, v[60:61]
	s_xor_b32 s90, exec_lo, s90
	s_cbranch_execz .LBB21_221
; %bb.216:                              ;   in Loop: Header=BB21_164 Depth=3
	s_mov_b32 s3, exec_lo
                                        ; implicit-def: $vgpr4_vgpr5
	v_cmpx_nlt_f64_e32 0, v[60:61]
	s_xor_b32 s3, exec_lo, s3
	s_cbranch_execz .LBB21_218
; %bb.217:                              ;   in Loop: Header=BB21_164 Depth=3
	v_mul_f64_e32 v[2:3], 0.5, v[56:57]
	v_mul_f64_e32 v[4:5], -0.5, v[56:57]
                                        ; implicit-def: $vgpr60_vgpr61
                                        ; implicit-def: $vgpr52_vgpr53
                                        ; implicit-def: $vgpr54_vgpr55
                                        ; implicit-def: $vgpr58_vgpr59
.LBB21_218:                             ;   in Loop: Header=BB21_164 Depth=3
	s_and_not1_saveexec_b32 s91, s3
	s_cbranch_execz .LBB21_220
; %bb.219:                              ;   in Loop: Header=BB21_164 Depth=3
	v_add_f64_e32 v[2:3], v[60:61], v[56:57]
	s_delay_alu instid0(VALU_DEP_1) | instskip(NEXT) | instid1(VALU_DEP_1)
	v_mul_f64_e32 v[2:3], 0.5, v[2:3]
	v_div_scale_f64 v[4:5], null, v[2:3], v[2:3], v[52:53]
	v_div_scale_f64 v[60:61], null, v[2:3], v[2:3], v[54:55]
	v_div_scale_f64 v[72:73], vcc_lo, v[52:53], v[2:3], v[52:53]
	s_delay_alu instid0(VALU_DEP_3) | instskip(NEXT) | instid1(VALU_DEP_2)
	v_rcp_f64_e32 v[62:63], v[4:5]
	v_rcp_f64_e32 v[66:67], v[60:61]
	s_delay_alu instid0(TRANS32_DEP_2) | instskip(NEXT) | instid1(TRANS32_DEP_1)
	v_fma_f64 v[68:69], -v[4:5], v[62:63], 1.0
	v_fma_f64 v[70:71], -v[60:61], v[66:67], 1.0
	s_delay_alu instid0(VALU_DEP_2) | instskip(NEXT) | instid1(VALU_DEP_2)
	v_fmac_f64_e32 v[62:63], v[62:63], v[68:69]
	v_fmac_f64_e32 v[66:67], v[66:67], v[70:71]
	s_delay_alu instid0(VALU_DEP_2) | instskip(NEXT) | instid1(VALU_DEP_2)
	v_fma_f64 v[68:69], -v[4:5], v[62:63], 1.0
	v_fma_f64 v[70:71], -v[60:61], v[66:67], 1.0
	s_delay_alu instid0(VALU_DEP_2) | instskip(SKIP_1) | instid1(VALU_DEP_3)
	v_fmac_f64_e32 v[62:63], v[62:63], v[68:69]
	v_div_scale_f64 v[68:69], s3, v[54:55], v[2:3], v[54:55]
	v_fmac_f64_e32 v[66:67], v[66:67], v[70:71]
	s_delay_alu instid0(VALU_DEP_3) | instskip(NEXT) | instid1(VALU_DEP_2)
	v_mul_f64_e32 v[70:71], v[72:73], v[62:63]
	v_mul_f64_e32 v[74:75], v[68:69], v[66:67]
	s_delay_alu instid0(VALU_DEP_2) | instskip(NEXT) | instid1(VALU_DEP_2)
	v_fma_f64 v[4:5], -v[4:5], v[70:71], v[72:73]
	v_fma_f64 v[60:61], -v[60:61], v[74:75], v[68:69]
	s_delay_alu instid0(VALU_DEP_2) | instskip(SKIP_1) | instid1(VALU_DEP_2)
	v_div_fmas_f64 v[4:5], v[4:5], v[62:63], v[70:71]
	s_mov_b32 vcc_lo, s3
	v_div_fmas_f64 v[60:61], v[60:61], v[66:67], v[74:75]
	s_delay_alu instid0(VALU_DEP_2) | instskip(NEXT) | instid1(VALU_DEP_2)
	v_div_fixup_f64 v[4:5], v[4:5], v[2:3], v[52:53]
	v_div_fixup_f64 v[60:61], v[60:61], v[2:3], v[54:55]
	s_delay_alu instid0(VALU_DEP_1) | instskip(NEXT) | instid1(VALU_DEP_1)
	v_mul_f64_e32 v[52:53], v[54:55], v[60:61]
	v_fma_f64 v[4:5], v[58:59], v[4:5], -v[52:53]
.LBB21_220:                             ;   in Loop: Header=BB21_164 Depth=3
	s_or_b32 exec_lo, exec_lo, s91
                                        ; implicit-def: $vgpr60_vgpr61
                                        ; implicit-def: $vgpr52_vgpr53
                                        ; implicit-def: $vgpr54_vgpr55
                                        ; implicit-def: $vgpr58_vgpr59
.LBB21_221:                             ;   in Loop: Header=BB21_164 Depth=3
	s_or_saveexec_b32 s90, s90
	v_mov_b32_e32 v8, 1
	s_xor_b32 exec_lo, exec_lo, s90
	s_cbranch_execz .LBB21_223
; %bb.222:                              ;   in Loop: Header=BB21_164 Depth=3
	v_dual_add_f64 v[2:3], v[60:61], -v[56:57] :: v_dual_mov_b32 v8, -1
	s_delay_alu instid0(VALU_DEP_1) | instskip(NEXT) | instid1(VALU_DEP_1)
	v_mul_f64_e32 v[2:3], 0.5, v[2:3]
	v_div_scale_f64 v[4:5], null, v[2:3], v[2:3], v[52:53]
	v_div_scale_f64 v[60:61], null, v[2:3], v[2:3], v[54:55]
	v_div_scale_f64 v[72:73], vcc_lo, v[52:53], v[2:3], v[52:53]
	s_delay_alu instid0(VALU_DEP_3) | instskip(NEXT) | instid1(VALU_DEP_2)
	v_rcp_f64_e32 v[62:63], v[4:5]
	v_rcp_f64_e32 v[66:67], v[60:61]
	s_delay_alu instid0(TRANS32_DEP_2) | instskip(NEXT) | instid1(TRANS32_DEP_1)
	v_fma_f64 v[68:69], -v[4:5], v[62:63], 1.0
	v_fma_f64 v[70:71], -v[60:61], v[66:67], 1.0
	s_delay_alu instid0(VALU_DEP_2) | instskip(NEXT) | instid1(VALU_DEP_2)
	v_fmac_f64_e32 v[62:63], v[62:63], v[68:69]
	v_fmac_f64_e32 v[66:67], v[66:67], v[70:71]
	s_delay_alu instid0(VALU_DEP_2) | instskip(NEXT) | instid1(VALU_DEP_2)
	v_fma_f64 v[68:69], -v[4:5], v[62:63], 1.0
	v_fma_f64 v[70:71], -v[60:61], v[66:67], 1.0
	s_delay_alu instid0(VALU_DEP_2) | instskip(SKIP_1) | instid1(VALU_DEP_3)
	v_fmac_f64_e32 v[62:63], v[62:63], v[68:69]
	v_div_scale_f64 v[68:69], s3, v[54:55], v[2:3], v[54:55]
	v_fmac_f64_e32 v[66:67], v[66:67], v[70:71]
	s_delay_alu instid0(VALU_DEP_3) | instskip(NEXT) | instid1(VALU_DEP_2)
	v_mul_f64_e32 v[70:71], v[72:73], v[62:63]
	v_mul_f64_e32 v[74:75], v[68:69], v[66:67]
	s_delay_alu instid0(VALU_DEP_2) | instskip(NEXT) | instid1(VALU_DEP_2)
	v_fma_f64 v[4:5], -v[4:5], v[70:71], v[72:73]
	v_fma_f64 v[60:61], -v[60:61], v[74:75], v[68:69]
	s_delay_alu instid0(VALU_DEP_2) | instskip(SKIP_1) | instid1(VALU_DEP_2)
	v_div_fmas_f64 v[4:5], v[4:5], v[62:63], v[70:71]
	s_mov_b32 vcc_lo, s3
	v_div_fmas_f64 v[60:61], v[60:61], v[66:67], v[74:75]
	s_delay_alu instid0(VALU_DEP_2) | instskip(NEXT) | instid1(VALU_DEP_2)
	v_div_fixup_f64 v[4:5], v[4:5], v[2:3], v[52:53]
	v_div_fixup_f64 v[60:61], v[60:61], v[2:3], v[54:55]
	s_delay_alu instid0(VALU_DEP_1) | instskip(NEXT) | instid1(VALU_DEP_1)
	v_mul_f64_e32 v[52:53], v[54:55], v[60:61]
	v_fma_f64 v[4:5], v[58:59], v[4:5], -v[52:53]
.LBB21_223:                             ;   in Loop: Header=BB21_164 Depth=3
	s_or_b32 exec_lo, exec_lo, s90
	s_delay_alu instid0(SALU_CYCLE_1)
	s_mov_b32 s3, exec_lo
                                        ; implicit-def: $vgpr52_vgpr53
	v_cmpx_le_f64_e32 0, v[50:51]
	s_xor_b32 s3, exec_lo, s3
; %bb.224:                              ;   in Loop: Header=BB21_164 Depth=3
	v_add_f64_e32 v[52:53], v[50:51], v[56:57]
                                        ; implicit-def: $vgpr56_vgpr57
                                        ; implicit-def: $vgpr50_vgpr51
; %bb.225:                              ;   in Loop: Header=BB21_164 Depth=3
	s_or_saveexec_b32 s3, s3
	v_mov_b32_e32 v41, 1
	s_xor_b32 exec_lo, exec_lo, s3
; %bb.226:                              ;   in Loop: Header=BB21_164 Depth=3
	v_dual_add_f64 v[52:53], v[50:51], -v[56:57] :: v_dual_mov_b32 v41, -1
; %bb.227:                              ;   in Loop: Header=BB21_164 Depth=3
	s_or_b32 exec_lo, exec_lo, s3
	s_delay_alu instid0(VALU_DEP_1) | instskip(SKIP_1) | instid1(SALU_CYCLE_1)
	v_cmp_ngt_f64_e64 s3, |v[52:53]|, |v[48:49]|
                                        ; implicit-def: $vgpr54_vgpr55
                                        ; implicit-def: $vgpr50_vgpr51
	s_and_saveexec_b32 s90, s3
	s_xor_b32 s3, exec_lo, s90
	s_cbranch_execz .LBB21_231
; %bb.228:                              ;   in Loop: Header=BB21_164 Depth=3
	v_mov_b64_e32 v[50:51], 0
	v_mov_b64_e32 v[54:55], 1.0
	s_mov_b32 s90, exec_lo
	v_cmpx_neq_f64_e32 0, v[48:49]
	s_cbranch_execz .LBB21_230
; %bb.229:                              ;   in Loop: Header=BB21_164 Depth=3
	v_div_scale_f64 v[50:51], null, v[48:49], v[48:49], -v[52:53]
	v_div_scale_f64 v[58:59], vcc_lo, -v[52:53], v[48:49], -v[52:53]
	s_delay_alu instid0(VALU_DEP_2) | instskip(SKIP_1) | instid1(TRANS32_DEP_1)
	v_rcp_f64_e32 v[54:55], v[50:51]
	v_nop
	v_fma_f64 v[56:57], -v[50:51], v[54:55], 1.0
	s_delay_alu instid0(VALU_DEP_1) | instskip(NEXT) | instid1(VALU_DEP_1)
	v_fmac_f64_e32 v[54:55], v[54:55], v[56:57]
	v_fma_f64 v[56:57], -v[50:51], v[54:55], 1.0
	s_delay_alu instid0(VALU_DEP_1) | instskip(NEXT) | instid1(VALU_DEP_1)
	v_fmac_f64_e32 v[54:55], v[54:55], v[56:57]
	v_mul_f64_e32 v[56:57], v[58:59], v[54:55]
	s_delay_alu instid0(VALU_DEP_1) | instskip(NEXT) | instid1(VALU_DEP_1)
	v_fma_f64 v[50:51], -v[50:51], v[56:57], v[58:59]
	v_div_fmas_f64 v[50:51], v[50:51], v[54:55], v[56:57]
	s_delay_alu instid0(VALU_DEP_1) | instskip(NEXT) | instid1(VALU_DEP_1)
	v_div_fixup_f64 v[48:49], v[50:51], v[48:49], -v[52:53]
	v_fma_f64 v[50:51], v[48:49], v[48:49], 1.0
	s_delay_alu instid0(VALU_DEP_1) | instskip(SKIP_1) | instid1(VALU_DEP_1)
	v_cmp_gt_f64_e32 vcc_lo, 0x10000000, v[50:51]
	v_cndmask_b32_e64 v52, 0, 0x100, vcc_lo
	v_ldexp_f64 v[50:51], v[50:51], v52
	s_delay_alu instid0(VALU_DEP_1) | instskip(SKIP_1) | instid1(TRANS32_DEP_1)
	v_rsq_f64_e32 v[52:53], v[50:51]
	v_nop
	v_mul_f64_e32 v[54:55], v[50:51], v[52:53]
	v_mul_f64_e32 v[52:53], 0.5, v[52:53]
	s_delay_alu instid0(VALU_DEP_1) | instskip(NEXT) | instid1(VALU_DEP_1)
	v_fma_f64 v[56:57], -v[52:53], v[54:55], 0.5
	v_fmac_f64_e32 v[54:55], v[54:55], v[56:57]
	v_fmac_f64_e32 v[52:53], v[52:53], v[56:57]
	s_delay_alu instid0(VALU_DEP_2) | instskip(NEXT) | instid1(VALU_DEP_1)
	v_fma_f64 v[56:57], -v[54:55], v[54:55], v[50:51]
	v_fmac_f64_e32 v[54:55], v[56:57], v[52:53]
	s_delay_alu instid0(VALU_DEP_1) | instskip(NEXT) | instid1(VALU_DEP_1)
	v_fma_f64 v[56:57], -v[54:55], v[54:55], v[50:51]
	v_fmac_f64_e32 v[54:55], v[56:57], v[52:53]
	v_cndmask_b32_e64 v52, 0, 0xffffff80, vcc_lo
	v_cmp_class_f64_e64 vcc_lo, v[50:51], 0x260
	s_delay_alu instid0(VALU_DEP_2) | instskip(NEXT) | instid1(VALU_DEP_1)
	v_ldexp_f64 v[52:53], v[54:55], v52
	v_dual_cndmask_b32 v51, v53, v51 :: v_dual_cndmask_b32 v50, v52, v50
	s_delay_alu instid0(VALU_DEP_1) | instskip(NEXT) | instid1(VALU_DEP_1)
	v_div_scale_f64 v[52:53], null, v[50:51], v[50:51], 1.0
	v_rcp_f64_e32 v[54:55], v[52:53]
	v_nop
	s_delay_alu instid0(TRANS32_DEP_1) | instskip(NEXT) | instid1(VALU_DEP_1)
	v_fma_f64 v[56:57], -v[52:53], v[54:55], 1.0
	v_fmac_f64_e32 v[54:55], v[54:55], v[56:57]
	s_delay_alu instid0(VALU_DEP_1) | instskip(NEXT) | instid1(VALU_DEP_1)
	v_fma_f64 v[56:57], -v[52:53], v[54:55], 1.0
	v_fmac_f64_e32 v[54:55], v[54:55], v[56:57]
	v_div_scale_f64 v[56:57], vcc_lo, 1.0, v[50:51], 1.0
	s_delay_alu instid0(VALU_DEP_1) | instskip(NEXT) | instid1(VALU_DEP_1)
	v_mul_f64_e32 v[58:59], v[56:57], v[54:55]
	v_fma_f64 v[52:53], -v[52:53], v[58:59], v[56:57]
	s_delay_alu instid0(VALU_DEP_1) | instskip(NEXT) | instid1(VALU_DEP_1)
	v_div_fmas_f64 v[52:53], v[52:53], v[54:55], v[58:59]
	v_div_fixup_f64 v[54:55], v[52:53], v[50:51], 1.0
	s_delay_alu instid0(VALU_DEP_1)
	v_mul_f64_e32 v[50:51], v[48:49], v[54:55]
.LBB21_230:                             ;   in Loop: Header=BB21_164 Depth=3
	s_or_b32 exec_lo, exec_lo, s90
                                        ; implicit-def: $vgpr52_vgpr53
                                        ; implicit-def: $vgpr48_vgpr49
.LBB21_231:                             ;   in Loop: Header=BB21_164 Depth=3
	s_and_not1_saveexec_b32 s3, s3
	s_cbranch_execz .LBB21_233
; %bb.232:                              ;   in Loop: Header=BB21_164 Depth=3
	v_div_scale_f64 v[50:51], null, v[52:53], v[52:53], -v[48:49]
	v_div_scale_f64 v[58:59], vcc_lo, -v[48:49], v[52:53], -v[48:49]
	s_delay_alu instid0(VALU_DEP_2) | instskip(SKIP_1) | instid1(TRANS32_DEP_1)
	v_rcp_f64_e32 v[54:55], v[50:51]
	v_nop
	v_fma_f64 v[56:57], -v[50:51], v[54:55], 1.0
	s_delay_alu instid0(VALU_DEP_1) | instskip(NEXT) | instid1(VALU_DEP_1)
	v_fmac_f64_e32 v[54:55], v[54:55], v[56:57]
	v_fma_f64 v[56:57], -v[50:51], v[54:55], 1.0
	s_delay_alu instid0(VALU_DEP_1) | instskip(NEXT) | instid1(VALU_DEP_1)
	v_fmac_f64_e32 v[54:55], v[54:55], v[56:57]
	v_mul_f64_e32 v[56:57], v[58:59], v[54:55]
	s_delay_alu instid0(VALU_DEP_1) | instskip(NEXT) | instid1(VALU_DEP_1)
	v_fma_f64 v[50:51], -v[50:51], v[56:57], v[58:59]
	v_div_fmas_f64 v[50:51], v[50:51], v[54:55], v[56:57]
	s_delay_alu instid0(VALU_DEP_1) | instskip(NEXT) | instid1(VALU_DEP_1)
	v_div_fixup_f64 v[48:49], v[50:51], v[52:53], -v[48:49]
	v_fma_f64 v[50:51], v[48:49], v[48:49], 1.0
	s_delay_alu instid0(VALU_DEP_1) | instskip(SKIP_1) | instid1(VALU_DEP_1)
	v_cmp_gt_f64_e32 vcc_lo, 0x10000000, v[50:51]
	v_cndmask_b32_e64 v52, 0, 0x100, vcc_lo
	v_ldexp_f64 v[50:51], v[50:51], v52
	s_delay_alu instid0(VALU_DEP_1) | instskip(SKIP_1) | instid1(TRANS32_DEP_1)
	v_rsq_f64_e32 v[52:53], v[50:51]
	v_nop
	v_mul_f64_e32 v[54:55], v[50:51], v[52:53]
	v_mul_f64_e32 v[52:53], 0.5, v[52:53]
	s_delay_alu instid0(VALU_DEP_1) | instskip(NEXT) | instid1(VALU_DEP_1)
	v_fma_f64 v[56:57], -v[52:53], v[54:55], 0.5
	v_fmac_f64_e32 v[54:55], v[54:55], v[56:57]
	v_fmac_f64_e32 v[52:53], v[52:53], v[56:57]
	s_delay_alu instid0(VALU_DEP_2) | instskip(NEXT) | instid1(VALU_DEP_1)
	v_fma_f64 v[56:57], -v[54:55], v[54:55], v[50:51]
	v_fmac_f64_e32 v[54:55], v[56:57], v[52:53]
	s_delay_alu instid0(VALU_DEP_1) | instskip(NEXT) | instid1(VALU_DEP_1)
	v_fma_f64 v[56:57], -v[54:55], v[54:55], v[50:51]
	v_fmac_f64_e32 v[54:55], v[56:57], v[52:53]
	v_cndmask_b32_e64 v52, 0, 0xffffff80, vcc_lo
	v_cmp_class_f64_e64 vcc_lo, v[50:51], 0x260
	s_delay_alu instid0(VALU_DEP_2) | instskip(NEXT) | instid1(VALU_DEP_1)
	v_ldexp_f64 v[52:53], v[54:55], v52
	v_dual_cndmask_b32 v51, v53, v51 :: v_dual_cndmask_b32 v50, v52, v50
	s_delay_alu instid0(VALU_DEP_1) | instskip(NEXT) | instid1(VALU_DEP_1)
	v_div_scale_f64 v[52:53], null, v[50:51], v[50:51], 1.0
	v_rcp_f64_e32 v[54:55], v[52:53]
	v_nop
	s_delay_alu instid0(TRANS32_DEP_1) | instskip(NEXT) | instid1(VALU_DEP_1)
	v_fma_f64 v[56:57], -v[52:53], v[54:55], 1.0
	v_fmac_f64_e32 v[54:55], v[54:55], v[56:57]
	s_delay_alu instid0(VALU_DEP_1) | instskip(NEXT) | instid1(VALU_DEP_1)
	v_fma_f64 v[56:57], -v[52:53], v[54:55], 1.0
	v_fmac_f64_e32 v[54:55], v[54:55], v[56:57]
	v_div_scale_f64 v[56:57], vcc_lo, 1.0, v[50:51], 1.0
	s_delay_alu instid0(VALU_DEP_1) | instskip(NEXT) | instid1(VALU_DEP_1)
	v_mul_f64_e32 v[58:59], v[56:57], v[54:55]
	v_fma_f64 v[52:53], -v[52:53], v[58:59], v[56:57]
	s_delay_alu instid0(VALU_DEP_1) | instskip(NEXT) | instid1(VALU_DEP_1)
	v_div_fmas_f64 v[52:53], v[52:53], v[54:55], v[58:59]
	v_div_fixup_f64 v[50:51], v[52:53], v[50:51], 1.0
	s_delay_alu instid0(VALU_DEP_1)
	v_mul_f64_e32 v[54:55], v[48:49], v[50:51]
.LBB21_233:                             ;   in Loop: Header=BB21_164 Depth=3
	s_or_b32 exec_lo, exec_lo, s3
	v_cmp_eq_u32_e32 vcc_lo, v8, v41
	s_delay_alu instid0(VALU_DEP_2) | instskip(SKIP_1) | instid1(VALU_DEP_4)
	v_xor_b32_e32 v8, 0x80000000, v51
	v_lshl_add_u64 v[44:45], v[44:45], 3, s[70:71]
	v_dual_cndmask_b32 v49, v51, v55 :: v_dual_cndmask_b32 v48, v50, v54
	s_delay_alu instid0(VALU_DEP_3) | instskip(SKIP_1) | instid1(VALU_DEP_4)
	v_dual_cndmask_b32 v51, v55, v8 :: v_dual_cndmask_b32 v50, v54, v50
	v_add_nc_u32_e32 v8, 2, v40
	v_lshl_add_u64 v[52:53], s[60:61], 3, v[44:45]
	s_clause 0x1
	global_store_b64 v[44:45], v[50:51], off
	global_store_b64 v[52:53], v[48:49], off offset:-8
	global_store_b128 v[42:43], v[2:5], off
	global_store_b64 v[46:47], v[14:15], off
	ds_store_b32 v9, v8 offset:16
	s_wait_xcnt 0x0
	s_or_b32 exec_lo, exec_lo, s57
                                        ; implicit-def: $vgpr3
.LBB21_234:                             ;   in Loop: Header=BB21_164 Depth=3
	s_and_not1_saveexec_b32 s3, s30
.LBB21_235:                             ;   in Loop: Header=BB21_164 Depth=3
	ds_store_b32 v9, v3 offset:16
.LBB21_236:                             ;   in Loop: Header=BB21_164 Depth=3
	s_or_b32 exec_lo, exec_lo, s3
.LBB21_237:                             ;   in Loop: Header=BB21_164 Depth=3
	s_delay_alu instid0(SALU_CYCLE_1)
	s_or_b32 exec_lo, exec_lo, s21
	s_wait_storecnt_dscnt 0x0
	s_barrier_signal -1
	s_barrier_wait -1
	ds_load_b64 v[2:3], v9 offset:16
	s_wait_dscnt 0x0
	v_readfirstlane_b32 s21, v3
	s_delay_alu instid0(VALU_DEP_1)
	v_cmp_eq_u32_e32 vcc_lo, s21, v2
	v_mov_b32_e32 v40, s21
	s_cbranch_vccnz .LBB21_163
; %bb.238:                              ;   in Loop: Header=BB21_164 Depth=3
	s_and_saveexec_b32 s3, s1
	s_cbranch_execz .LBB21_162
; %bb.239:                              ;   in Loop: Header=BB21_164 Depth=3
	ds_load_b32 v2, v9 offset:28
	v_mov_b32_e32 v8, v0
	s_mov_b32 s57, 0
	s_wait_dscnt 0x0
	v_mul_lo_u32 v4, v2, s23
	v_readfirstlane_b32 s30, v2
	v_ashrrev_i32_e32 v3, 31, v2
	s_sub_co_i32 s90, s21, s30
	s_delay_alu instid0(SALU_CYCLE_1) | instskip(NEXT) | instid1(SALU_CYCLE_1)
	s_ashr_i32 s91, s90, 31
	s_mul_u64 s[92:93], s[90:91], s[34:35]
	v_ashrrev_i32_e32 v5, 31, v4
	v_lshlrev_b64_e32 v[2:3], 3, v[2:3]
	s_lshl_b64 s[92:93], s[92:93], 3
	s_cmp_gt_i32 s90, 0
	s_cselect_b32 s21, -1, 0
	v_lshlrev_b64_e32 v[4:5], 3, v[4:5]
	s_add_co_i32 s30, s90, -1
	s_delay_alu instid0(SALU_CYCLE_1) | instskip(SKIP_2) | instid1(VALU_DEP_2)
	s_lshl_b64 s[94:95], s[30:31], 3
	s_mul_u64 s[96:97], s[48:49], s[30:31]
	v_add_nc_u64_e32 v[40:41], s[94:95], v[2:3]
	v_add_nc_u64_e32 v[2:3], s[68:69], v[4:5]
	;; [unrolled: 1-line block ×3, first 2 shown]
	s_delay_alu instid0(VALU_DEP_3) | instskip(NEXT) | instid1(VALU_DEP_3)
	v_add_nc_u64_e32 v[4:5], s[84:85], v[40:41]
	v_add_nc_u64_e32 v[40:41], s[92:93], v[2:3]
	s_delay_alu instid0(VALU_DEP_3)
	v_add_nc_u64_e32 v[42:43], v[30:31], v[42:43]
	s_branch .LBB21_241
.LBB21_240:                             ;   in Loop: Header=BB21_241 Depth=4
	s_wait_xcnt 0x0
	v_add_nc_u32_e32 v8, s33, v8
	v_add_nc_u64_e32 v[42:43], s[40:41], v[42:43]
	s_wait_loadcnt 0x0
	global_store_b64 v[44:45], v[46:47], off
	v_cmp_le_i32_e32 vcc_lo, s60, v8
	s_or_b32 s57, vcc_lo, s57
	s_wait_xcnt 0x0
	s_and_not1_b32 exec_lo, exec_lo, s57
	s_cbranch_execz .LBB21_162
.LBB21_241:                             ;   Parent Loop BB21_7 Depth=1
                                        ;     Parent Loop BB21_20 Depth=2
                                        ;       Parent Loop BB21_164 Depth=3
                                        ; =>      This Loop Header: Depth=4
                                        ;           Child Loop BB21_242 Depth 5
	s_delay_alu instid0(VALU_DEP_2) | instskip(NEXT) | instid1(VALU_DEP_3)
	v_readfirstlane_b32 s92, v40
	v_readfirstlane_b32 s93, v41
	s_delay_alu instid0(VALU_DEP_3)
	v_mov_b64_e32 v[48:49], v[42:43]
	v_mov_b64_e32 v[50:51], v[4:5]
	v_lshl_add_u64 v[44:45], v[8:9], 3, v[2:3]
	s_and_not1_b32 vcc_lo, exec_lo, s21
	global_load_b64 v[46:47], v8, s[92:93] scale_offset
	s_mov_b32 s30, s90
	s_cbranch_vccnz .LBB21_240
.LBB21_242:                             ;   Parent Loop BB21_7 Depth=1
                                        ;     Parent Loop BB21_20 Depth=2
                                        ;       Parent Loop BB21_164 Depth=3
                                        ;         Parent Loop BB21_241 Depth=4
                                        ; =>        This Inner Loop Header: Depth=5
	s_wait_xcnt 0x0
	v_add_nc_u64_e32 v[52:53], s[82:83], v[50:51]
	s_wait_loadcnt 0x0
	v_mov_b64_e32 v[58:59], v[46:47]
	s_mul_u64 s[92:93], s[30:31], s[34:35]
	s_add_co_i32 s30, s30, -1
	global_load_b64 v[54:55], v[48:49], off
	s_clause 0x1
	global_load_b64 v[52:53], v[52:53], off
	global_load_b64 v[56:57], v[50:51], off
	s_wait_xcnt 0x0
	v_add_nc_u64_e32 v[50:51], -8, v[50:51]
	v_add_nc_u64_e32 v[48:49], s[52:53], v[48:49]
	s_cmp_eq_u32 s30, 0
	s_wait_loadcnt 0x1
	v_mul_f64_e32 v[60:61], v[52:53], v[54:55]
	s_wait_loadcnt 0x0
	v_mul_f64_e32 v[46:47], v[56:57], v[54:55]
	s_delay_alu instid0(VALU_DEP_2) | instskip(NEXT) | instid1(VALU_DEP_2)
	v_fma_f64 v[54:55], v[58:59], v[56:57], -v[60:61]
	v_fmac_f64_e32 v[46:47], v[58:59], v[52:53]
	v_lshl_add_u64 v[52:53], s[92:93], 3, v[44:45]
	global_store_b64 v[52:53], v[54:55], off
	s_cbranch_scc0 .LBB21_242
	s_branch .LBB21_240
.LBB21_243:                             ;   in Loop: Header=BB21_164 Depth=3
	s_or_b32 exec_lo, exec_lo, s57
                                        ; implicit-def: $vgpr3
	s_and_not1_saveexec_b32 s3, s30
	s_cbranch_execnz .LBB21_235
	s_branch .LBB21_236
.LBB21_244:                             ;   in Loop: Header=BB21_7 Depth=1
	s_mov_b32 s1, exec_lo
	v_cmpx_gt_i32_e64 s56, v0
	s_cbranch_execz .LBB21_5
; %bb.245:                              ;   in Loop: Header=BB21_7 Depth=1
	v_lshl_add_u64 v[2:3], s[58:59], 3, v[12:13]
	v_mov_b32_e32 v4, v0
	s_mov_b32 s2, 0
	s_branch .LBB21_247
.LBB21_246:                             ;   in Loop: Header=BB21_247 Depth=2
	s_wait_xcnt 0x0
	s_or_b32 exec_lo, exec_lo, s3
	v_add_nc_u32_e32 v4, s33, v4
	v_add_nc_u64_e32 v[2:3], s[40:41], v[2:3]
	s_delay_alu instid0(VALU_DEP_2) | instskip(SKIP_1) | instid1(SALU_CYCLE_1)
	v_cmp_le_i32_e32 vcc_lo, s56, v4
	s_or_b32 s2, vcc_lo, s2
	s_and_not1_b32 exec_lo, exec_lo, s2
	s_cbranch_execz .LBB21_5
.LBB21_247:                             ;   Parent Loop BB21_7 Depth=1
                                        ; =>  This Inner Loop Header: Depth=2
	global_load_b64 v[30:31], v[2:3], off
	s_mov_b32 s3, exec_lo
	s_wait_loadcnt 0x0
	s_wait_xcnt 0x0
	v_cmpx_neq_f64_e32 0, v[30:31]
	s_cbranch_execz .LBB21_246
; %bb.248:                              ;   in Loop: Header=BB21_247 Depth=2
	s_mov_b32 s15, exec_lo
	s_delay_alu instid0(SALU_CYCLE_1) | instskip(NEXT) | instid1(VALU_DEP_1)
	v_mbcnt_lo_u32_b32 v5, s15, 0
	v_cmp_eq_u32_e32 vcc_lo, 0, v5
	s_and_b32 s21, exec_lo, vcc_lo
	s_delay_alu instid0(SALU_CYCLE_1)
	s_mov_b32 exec_lo, s21
	s_cbranch_execz .LBB21_246
; %bb.249:                              ;   in Loop: Header=BB21_247 Depth=2
	s_bcnt1_i32_b32 s15, s15
	s_delay_alu instid0(SALU_CYCLE_1)
	v_mov_b32_e32 v5, s15
	global_atomic_add_u32 v9, v5, s[6:7] scope:SCOPE_DEV
	s_branch .LBB21_246
.LBB21_250:
	s_endpgm
.LBB21_251:
	s_mov_b32 s3, -1
                                        ; implicit-def: $sgpr4_sgpr5
	s_branch .LBB21_2
	.section	.rodata,"a",@progbits
	.p2align	6, 0x0
	.amdhsa_kernel _ZN9rocsolver6v33100L19stedcx_solve_kernelIdEEviPT_lS3_lS3_iilPiS3_S4_S2_S2_S2_
		.amdhsa_group_segment_fixed_size 48
		.amdhsa_private_segment_fixed_size 0
		.amdhsa_kernarg_size 368
		.amdhsa_user_sgpr_count 2
		.amdhsa_user_sgpr_dispatch_ptr 0
		.amdhsa_user_sgpr_queue_ptr 0
		.amdhsa_user_sgpr_kernarg_segment_ptr 1
		.amdhsa_user_sgpr_dispatch_id 0
		.amdhsa_user_sgpr_kernarg_preload_length 0
		.amdhsa_user_sgpr_kernarg_preload_offset 0
		.amdhsa_user_sgpr_private_segment_size 0
		.amdhsa_wavefront_size32 1
		.amdhsa_uses_dynamic_stack 0
		.amdhsa_enable_private_segment 0
		.amdhsa_system_sgpr_workgroup_id_x 1
		.amdhsa_system_sgpr_workgroup_id_y 1
		.amdhsa_system_sgpr_workgroup_id_z 1
		.amdhsa_system_sgpr_workgroup_info 0
		.amdhsa_system_vgpr_workitem_id 0
		.amdhsa_next_free_vgpr 76
		.amdhsa_next_free_sgpr 105
		.amdhsa_named_barrier_count 0
		.amdhsa_reserve_vcc 1
		.amdhsa_float_round_mode_32 0
		.amdhsa_float_round_mode_16_64 0
		.amdhsa_float_denorm_mode_32 3
		.amdhsa_float_denorm_mode_16_64 3
		.amdhsa_fp16_overflow 0
		.amdhsa_memory_ordered 1
		.amdhsa_forward_progress 1
		.amdhsa_inst_pref_size 119
		.amdhsa_round_robin_scheduling 0
		.amdhsa_exception_fp_ieee_invalid_op 0
		.amdhsa_exception_fp_denorm_src 0
		.amdhsa_exception_fp_ieee_div_zero 0
		.amdhsa_exception_fp_ieee_overflow 0
		.amdhsa_exception_fp_ieee_underflow 0
		.amdhsa_exception_fp_ieee_inexact 0
		.amdhsa_exception_int_div_zero 0
	.end_amdhsa_kernel
	.section	.text._ZN9rocsolver6v33100L19stedcx_solve_kernelIdEEviPT_lS3_lS3_iilPiS3_S4_S2_S2_S2_,"axG",@progbits,_ZN9rocsolver6v33100L19stedcx_solve_kernelIdEEviPT_lS3_lS3_iilPiS3_S4_S2_S2_S2_,comdat
.Lfunc_end21:
	.size	_ZN9rocsolver6v33100L19stedcx_solve_kernelIdEEviPT_lS3_lS3_iilPiS3_S4_S2_S2_S2_, .Lfunc_end21-_ZN9rocsolver6v33100L19stedcx_solve_kernelIdEEviPT_lS3_lS3_iilPiS3_S4_S2_S2_S2_
                                        ; -- End function
	.set _ZN9rocsolver6v33100L19stedcx_solve_kernelIdEEviPT_lS3_lS3_iilPiS3_S4_S2_S2_S2_.num_vgpr, 76
	.set _ZN9rocsolver6v33100L19stedcx_solve_kernelIdEEviPT_lS3_lS3_iilPiS3_S4_S2_S2_S2_.num_agpr, 0
	.set _ZN9rocsolver6v33100L19stedcx_solve_kernelIdEEviPT_lS3_lS3_iilPiS3_S4_S2_S2_S2_.numbered_sgpr, 105
	.set _ZN9rocsolver6v33100L19stedcx_solve_kernelIdEEviPT_lS3_lS3_iilPiS3_S4_S2_S2_S2_.num_named_barrier, 0
	.set _ZN9rocsolver6v33100L19stedcx_solve_kernelIdEEviPT_lS3_lS3_iilPiS3_S4_S2_S2_S2_.private_seg_size, 0
	.set _ZN9rocsolver6v33100L19stedcx_solve_kernelIdEEviPT_lS3_lS3_iilPiS3_S4_S2_S2_S2_.uses_vcc, 1
	.set _ZN9rocsolver6v33100L19stedcx_solve_kernelIdEEviPT_lS3_lS3_iilPiS3_S4_S2_S2_S2_.uses_flat_scratch, 0
	.set _ZN9rocsolver6v33100L19stedcx_solve_kernelIdEEviPT_lS3_lS3_iilPiS3_S4_S2_S2_S2_.has_dyn_sized_stack, 0
	.set _ZN9rocsolver6v33100L19stedcx_solve_kernelIdEEviPT_lS3_lS3_iilPiS3_S4_S2_S2_S2_.has_recursion, 0
	.set _ZN9rocsolver6v33100L19stedcx_solve_kernelIdEEviPT_lS3_lS3_iilPiS3_S4_S2_S2_S2_.has_indirect_call, 0
	.section	.AMDGPU.csdata,"",@progbits
; Kernel info:
; codeLenInByte = 15176
; TotalNumSgprs: 107
; NumVgprs: 76
; ScratchSize: 0
; MemoryBound: 0
; FloatMode: 240
; IeeeMode: 1
; LDSByteSize: 48 bytes/workgroup (compile time only)
; SGPRBlocks: 0
; VGPRBlocks: 4
; NumSGPRsForWavesPerEU: 107
; NumVGPRsForWavesPerEU: 76
; NamedBarCnt: 0
; Occupancy: 12
; WaveLimiterHint : 1
; COMPUTE_PGM_RSRC2:SCRATCH_EN: 0
; COMPUTE_PGM_RSRC2:USER_SGPR: 2
; COMPUTE_PGM_RSRC2:TRAP_HANDLER: 0
; COMPUTE_PGM_RSRC2:TGID_X_EN: 1
; COMPUTE_PGM_RSRC2:TGID_Y_EN: 1
; COMPUTE_PGM_RSRC2:TGID_Z_EN: 1
; COMPUTE_PGM_RSRC2:TIDIG_COMP_CNT: 0
	.section	.text._ZN9rocsolver6v33100L26stedcx_mergePrepare_kernelIdEEviiPT_lS3_lS3_iilS3_S3_PiS2_,"axG",@progbits,_ZN9rocsolver6v33100L26stedcx_mergePrepare_kernelIdEEviiPT_lS3_lS3_iilS3_S3_PiS2_,comdat
	.globl	_ZN9rocsolver6v33100L26stedcx_mergePrepare_kernelIdEEviiPT_lS3_lS3_iilS3_S3_PiS2_ ; -- Begin function _ZN9rocsolver6v33100L26stedcx_mergePrepare_kernelIdEEviiPT_lS3_lS3_iilS3_S3_PiS2_
	.p2align	8
	.type	_ZN9rocsolver6v33100L26stedcx_mergePrepare_kernelIdEEviiPT_lS3_lS3_iilS3_S3_PiS2_,@function
_ZN9rocsolver6v33100L26stedcx_mergePrepare_kernelIdEEviiPT_lS3_lS3_iilS3_S3_PiS2_: ; @_ZN9rocsolver6v33100L26stedcx_mergePrepare_kernelIdEEviiPT_lS3_lS3_iilS3_S3_PiS2_
; %bb.0:
	s_clause 0x2
	s_load_b128 s[20:23], s[0:1], 0x28
	s_load_b256 s[4:11], s[0:1], 0x38
	s_load_b64 s[2:3], s[0:1], 0x58
	s_bfe_u32 s12, ttmp6, 0x40014
	s_lshr_b32 s13, ttmp7, 16
	s_add_co_i32 s12, s12, 1
	s_bfe_u32 s14, ttmp6, 0x40008
	s_mul_i32 s12, s13, s12
	s_getreg_b32 s27, hwreg(HW_REG_IB_STS2, 6, 4)
	s_add_co_i32 s14, s14, s12
	s_cmp_eq_u32 s27, 0
	s_mov_b32 s41, 0
	s_cselect_b32 s40, s13, s14
	s_wait_kmcnt 0x0
	s_cmp_lg_u64 s[20:21], 0
	s_cbranch_scc0 .LBB22_96
; %bb.1:
	s_mul_u64 s[4:5], s[4:5], s[40:41]
	s_ashr_i32 s13, s22, 31
	s_lshl_b64 s[4:5], s[4:5], 3
	s_mov_b32 s12, s22
	s_add_nc_u64 s[4:5], s[20:21], s[4:5]
	s_lshl_b64 s[12:13], s[12:13], 3
	s_delay_alu instid0(SALU_CYCLE_1)
	s_add_nc_u64 s[20:21], s[4:5], s[12:13]
	s_and_not1_b32 vcc_lo, exec_lo, s41
	s_cbranch_vccnz .LBB22_3
.LBB22_2:
	s_mov_b32 s41, 0
                                        ; implicit-def: $sgpr20_sgpr21
.LBB22_3:
	s_load_b64 s[24:25], s[0:1], 0x0
	s_bfe_u32 s4, ttmp6, 0x40010
	s_and_b32 s5, ttmp7, 0xffff
	s_add_co_i32 s4, s4, 1
	s_bfe_u32 s12, ttmp6, 0x40004
	s_mul_i32 s4, s5, s4
	s_mov_b32 s35, 0
	s_add_co_i32 s12, s12, s4
	s_cmp_eq_u32 s27, 0
	s_cselect_b32 s26, s5, s12
	s_wait_kmcnt 0x0
	s_mul_i32 s4, s25, 5
	s_ashr_i32 s37, s25, 31
	s_add_co_i32 s4, s4, 2
	s_mov_b32 s36, s25
	s_mul_i32 s4, s4, s40
	s_lshl_b64 s[38:39], s[36:37], 2
	s_ashr_i32 s5, s4, 31
	s_delay_alu instid0(SALU_CYCLE_1) | instskip(NEXT) | instid1(SALU_CYCLE_1)
	s_lshl_b64 s[4:5], s[4:5], 2
	s_add_nc_u64 s[28:29], s[10:11], s[4:5]
	s_delay_alu instid0(SALU_CYCLE_1)
	s_add_nc_u64 s[30:31], s[28:29], s[38:39]
	s_load_b32 s22, s[30:31], 0x4
	s_wait_kmcnt 0x0
	s_cmp_ge_i32 s26, s22
	s_cbranch_scc1 .LBB22_95
; %bb.4:
	s_clause 0x1
	s_load_b256 s[12:19], s[0:1], 0x8
	s_load_b32 s52, s[0:1], 0x6c
	s_wait_xcnt 0x0
	s_lshl_b32 s1, s40, 1
	s_bfe_u32 s44, ttmp6, 0x4000c
	s_mul_i32 s34, s25, s25
	s_mul_i32 s0, s1, s25
	s_add_co_i32 s44, s44, 1
	s_and_b32 s33, ttmp6, 15
	s_mul_i32 s46, s1, s34
	s_lshl_b64 s[42:43], s[34:35], 3
	s_ashr_i32 s1, s0, 31
	s_mul_i32 s34, ttmp9, s44
	s_lshl_b64 s[44:45], s[0:1], 3
	s_add_co_i32 s34, s33, s34
	s_ashr_i32 s47, s46, 31
	v_lshlrev_b32_e32 v6, 3, v0
	s_lshl_b64 s[46:47], s[46:47], 3
	v_ldexp_f64 v[2:3], s[2:3], 3
	s_mul_u64 s[2:3], s[36:37], 12
	s_add_nc_u64 s[6:7], s[6:7], s[44:45]
	s_wait_kmcnt 0x0
	s_mul_u64 s[0:1], s[14:15], s[40:41]
	s_and_b32 s33, s52, 0xffff
	s_mul_u64 s[14:15], s[18:19], s[40:41]
	s_lshl_b64 s[48:49], s[0:1], 3
	s_lshl_b32 s0, s33, 3
	s_lshl_b64 s[50:51], s[14:15], 3
	s_add_co_i32 s58, s0, 0
	s_cmp_eq_u32 s27, 0
	s_add_nc_u64 s[14:15], s[30:31], s[38:39]
	s_cselect_b32 s59, ttmp9, s34
	s_bfe_u32 s63, s52, 0xf0001
	s_lshl_b32 s61, 1, s24
	s_cvt_f32_u32 s0, s63
	s_lshl_b32 s62, 2, s24
	s_not_b32 s60, s24
	s_cmp_gt_i32 s61, 1
	s_mul_i32 s40, s62, s59
	v_rcp_iflag_f32_e32 v1, s0
	s_cselect_b32 s64, -1, 0
	s_ashr_i32 s41, s40, 31
	s_cmp_gt_i32 s62, 1
	s_bfm_b32 s0, s24, 0
	s_cselect_b32 s65, -1, 0
	s_cmp_gt_i32 s25, 0
	v_nop
	v_readfirstlane_b32 s1, v1
	s_cselect_b32 s66, -1, 0
	s_cmp_eq_u32 s24, 1
	v_mov_b32_e32 v1, 0
	s_cselect_b32 s67, -1, 0
	s_cmp_lg_u32 s24, 1
	s_add_nc_u64 s[52:53], s[38:39], s[4:5]
	s_cselect_b32 s68, -1, 0
	s_and_b32 s69, s0, -2
	s_or_b32 s70, s0, 1
	s_cmp_lg_u32 s0, s69
	s_mul_f32 s0, s1, 0x4f7ffffe
	s_cselect_b32 s71, -1, 0
	s_cmp_lg_u32 s24, 0
	s_add_nc_u64 s[54:55], s[10:11], s[52:53]
	s_cvt_u32_f32 s0, s0
	s_cselect_b32 s72, -1, 0
	s_sub_co_i32 s1, 0, s63
	s_add_nc_u64 s[4:5], s[2:3], s[4:5]
	s_mul_i32 s1, s1, s0
	s_add_nc_u64 s[2:3], s[8:9], s[46:47]
	s_mul_hi_u32 s1, s0, s1
	s_add_nc_u64 s[8:9], s[2:3], s[42:43]
	s_add_co_i32 s0, s0, s1
	s_lshl_b32 s3, s33, 2
	v_mul_hi_u32 v4, v0, s0
	s_and_b32 s34, s3, 0x3fff8
	v_cmp_eq_u32_e64 s0, 0, v0
	v_cmp_gt_u32_e64 s1, s63, v0
	v_cmp_le_u32_e64 s2, s63, v0
	s_add_nc_u64 s[36:37], s[14:15], s[38:39]
	s_add_nc_u64 s[4:5], s[10:11], s[4:5]
	s_mov_b64 s[18:19], 0x3ff6a09e667f3bcd
	s_add_nc_u64 s[38:39], s[36:37], s[38:39]
	s_add_nc_u64 s[12:13], s[12:13], s[48:49]
	;; [unrolled: 1-line block ×3, first 2 shown]
	v_mul_lo_u32 v5, v4, s63
	s_mul_i32 s73, s23, s63
	v_add_nc_u32_e32 v7, 1, v4
	s_add_co_i32 s74, s62, -2
	v_dual_add_nc_u32 v32, 0, v6 :: v_dual_add_nc_u32 v33, s58, v6
	s_delay_alu instid0(VALU_DEP_3) | instskip(NEXT) | instid1(VALU_DEP_1)
	v_sub_nc_u32_e32 v5, v0, v5
	v_subrev_nc_u32_e32 v8, s63, v5
	v_cmp_le_u32_e32 vcc_lo, s63, v5
	s_delay_alu instid0(VALU_DEP_2) | instskip(NEXT) | instid1(VALU_DEP_1)
	v_dual_cndmask_b32 v4, v4, v7 :: v_dual_cndmask_b32 v5, v5, v8
	v_add_nc_u32_e32 v7, 1, v4
	s_delay_alu instid0(VALU_DEP_2) | instskip(NEXT) | instid1(VALU_DEP_2)
	v_cmp_le_u32_e32 vcc_lo, s63, v5
	v_cndmask_b32_e32 v5, v4, v7, vcc_lo
	s_delay_alu instid0(VALU_DEP_1)
	v_lshl_add_u32 v4, v5, s24, s40
	v_mul_lo_u32 v8, v5, s63
	s_lshl_b64 s[40:41], s[40:41], 2
	s_add_co_i32 s24, s62, -1
	s_add_nc_u64 s[42:43], s[52:53], s[40:41]
	v_dual_add_nc_u32 v9, 1, v4 :: v_dual_ashrrev_i32 v5, 31, v4
	s_add_nc_u64 s[42:43], s[10:11], s[42:43]
	s_delay_alu instid0(SALU_CYCLE_1) | instskip(NEXT) | instid1(VALU_DEP_1)
	s_add_nc_u64 s[10:11], s[42:43], 8
	v_add3_u32 v10, s61, -2, v9
	s_delay_alu instid0(VALU_DEP_2)
	v_lshl_add_u64 v[6:7], v[4:5], 2, s[54:55]
	v_lshlrev_b64_e32 v[4:5], 2, v[4:5]
	v_sub_nc_u32_e32 v34, v0, v8
	s_add_nc_u64 s[42:43], s[4:5], 8
	v_cmp_ge_i32_e64 s3, v10, v9
	v_add_nc_u64_e32 v[6:7], 8, v[6:7]
	v_mov_b64_e32 v[8:9], 0
	s_branch .LBB22_6
.LBB22_5:                               ;   in Loop: Header=BB22_6 Depth=1
	s_add_co_i32 s26, s26, 8
	s_delay_alu instid0(SALU_CYCLE_1)
	s_cmp_ge_i32 s26, s22
	s_cbranch_scc1 .LBB22_95
.LBB22_6:                               ; =>This Loop Header: Depth=1
                                        ;     Child Loop BB22_16 Depth 2
                                        ;     Child Loop BB22_21 Depth 2
	;; [unrolled: 1-line block ×9, first 2 shown]
                                        ;       Child Loop BB22_55 Depth 3
                                        ;         Child Loop BB22_86 Depth 4
                                        ;     Child Loop BB22_91 Depth 2
	s_ashr_i32 s27, s26, 31
	s_delay_alu instid0(SALU_CYCLE_1)
	s_lshl_b64 s[4:5], s[26:27], 2
	s_barrier_signal -1
	s_add_nc_u64 s[4:5], s[28:29], s[4:5]
	s_barrier_wait -1
	global_load_b64 v[10:11], v1, s[4:5]
	s_mov_b32 s27, 0
	s_wait_loadcnt 0x0
	s_wait_xcnt 0x0
	v_readfirstlane_b32 s4, v10
	v_readfirstlane_b32 s5, v11
	s_sub_co_i32 s5, s5, s4
	s_delay_alu instid0(SALU_CYCLE_1)
	s_cmp_lt_i32 s5, 3
	s_cbranch_scc1 .LBB22_11
; %bb.7:                                ;   in Loop: Header=BB22_6 Depth=1
	s_cmp_lt_u32 s5, 5
	s_mov_b32 s27, 1
	s_cbranch_scc1 .LBB22_11
; %bb.8:                                ;   in Loop: Header=BB22_6 Depth=1
	s_cmp_lt_u32 s5, 33
	s_mov_b32 s27, 2
	;; [unrolled: 4-line block ×3, first 2 shown]
	s_cbranch_scc1 .LBB22_11
; %bb.10:                               ;   in Loop: Header=BB22_6 Depth=1
	s_cmp_lt_u32 s5, 0x128
	s_cselect_b32 s27, 5, 7
	s_cmp_lt_u32 s5, 0x79b
	s_cselect_b32 s27, s27, 8
.LBB22_11:                              ;   in Loop: Header=BB22_6 Depth=1
	s_delay_alu instid0(SALU_CYCLE_1) | instskip(NEXT) | instid1(SALU_CYCLE_1)
	s_add_co_i32 s5, s27, s60
	s_lshl_b32 s27, 1, s5
	s_cmp_gt_i32 s5, -1
	s_cselect_b32 s5, s27, 0
	s_delay_alu instid0(SALU_CYCLE_1)
	s_cmp_ge_i32 s59, s5
	s_cbranch_scc1 .LBB22_5
; %bb.12:                               ;   in Loop: Header=BB22_6 Depth=1
	s_ashr_i32 s5, s4, 31
	s_and_not1_b32 vcc_lo, exec_lo, s64
	s_lshl_b64 s[46:47], s[4:5], 2
	s_delay_alu instid0(SALU_CYCLE_1)
	s_add_nc_u64 s[44:45], s[14:15], s[46:47]
	s_add_nc_u64 s[48:49], s[30:31], s[46:47]
	v_add_nc_u64_e32 v[10:11], s[44:45], v[4:5]
	v_add_nc_u64_e32 v[16:17], s[48:49], v[4:5]
	s_clause 0x1
	global_load_b32 v14, v[10:11], off offset:8
	global_load_b32 v12, v[16:17], off offset:8
	s_cbranch_vccnz .LBB22_24
; %bb.13:                               ;   in Loop: Header=BB22_6 Depth=1
	s_wait_xcnt 0x1
	v_mov_b32_e32 v10, 1
	s_and_not1_b32 vcc_lo, exec_lo, s68
	s_cbranch_vccnz .LBB22_18
; %bb.14:                               ;   in Loop: Header=BB22_6 Depth=1
	v_mov_b32_e32 v10, 1
	s_mov_b32 s50, -1
	s_wait_xcnt 0x0
	s_and_saveexec_b32 s27, s3
	s_cbranch_execz .LBB22_19
; %bb.15:                               ;   in Loop: Header=BB22_6 Depth=1
	v_mov_b32_e32 v10, 0
	s_mov_b32 s50, 0
.LBB22_16:                              ;   Parent Loop BB22_6 Depth=1
                                        ; =>  This Inner Loop Header: Depth=2
	s_delay_alu instid0(SALU_CYCLE_1) | instskip(SKIP_3) | instid1(SALU_CYCLE_1)
	s_ashr_i32 s51, s50, 31
	s_wait_xcnt 0x0
	v_lshl_add_u64 v[18:19], s[50:51], 2, v[16:17]
	s_add_co_i32 s50, s50, 2
	s_cmp_lg_u32 s69, s50
	global_load_b64 v[18:19], v[18:19], off offset:12
	s_wait_loadcnt 0x0
	v_dual_add_nc_u32 v10, v19, v10 :: v_dual_add_nc_u32 v12, v18, v12
	s_cbranch_scc1 .LBB22_16
; %bb.17:                               ;   in Loop: Header=BB22_6 Depth=1
	s_delay_alu instid0(VALU_DEP_1)
	v_dual_add_nc_u32 v12, v12, v10 :: v_dual_mov_b32 v10, s70
	s_or_not1_b32 s50, s71, exec_lo
	s_wait_xcnt 0x0
	s_or_b32 exec_lo, exec_lo, s27
	s_and_saveexec_b32 s27, s50
	s_cbranch_execnz .LBB22_20
	s_branch .LBB22_23
.LBB22_18:                              ;   in Loop: Header=BB22_6 Depth=1
	s_mov_b32 s50, s67
	s_wait_xcnt 0x0
	s_and_saveexec_b32 s27, s50
	s_cbranch_execnz .LBB22_20
	s_branch .LBB22_23
.LBB22_19:                              ;   in Loop: Header=BB22_6 Depth=1
	s_or_b32 exec_lo, exec_lo, s27
	s_and_saveexec_b32 s27, s50
	s_cbranch_execz .LBB22_23
.LBB22_20:                              ;   in Loop: Header=BB22_6 Depth=1
	v_ashrrev_i32_e32 v11, 31, v10
	s_delay_alu instid0(VALU_DEP_1) | instskip(SKIP_1) | instid1(VALU_DEP_2)
	v_lshlrev_b64_e32 v[16:17], 2, v[10:11]
	v_sub_nc_u32_e32 v10, s61, v10
	v_lshl_add_u64 v[16:17], s[4:5], 2, v[16:17]
	s_mov_b32 s4, 0
	s_delay_alu instid0(VALU_DEP_1)
	v_add_nc_u64_e32 v[16:17], v[6:7], v[16:17]
.LBB22_21:                              ;   Parent Loop BB22_6 Depth=1
                                        ; =>  This Inner Loop Header: Depth=2
	global_load_b32 v11, v[16:17], off
	v_add_nc_u32_e32 v10, -1, v10
	s_wait_xcnt 0x0
	v_add_nc_u64_e32 v[16:17], 4, v[16:17]
	s_wait_loadcnt 0x0
	v_add_nc_u32_e32 v12, v11, v12
	v_cmp_eq_u32_e32 vcc_lo, 0, v10
	s_or_b32 s4, vcc_lo, s4
	s_delay_alu instid0(SALU_CYCLE_1)
	s_and_not1_b32 exec_lo, exec_lo, s4
	s_cbranch_execnz .LBB22_21
; %bb.22:                               ;   in Loop: Header=BB22_6 Depth=1
	s_or_b32 exec_lo, exec_lo, s4
.LBB22_23:                              ;   in Loop: Header=BB22_6 Depth=1
	s_delay_alu instid0(SALU_CYCLE_1)
	s_or_b32 exec_lo, exec_lo, s27
.LBB22_24:                              ;   in Loop: Header=BB22_6 Depth=1
	s_wait_loadcnt 0x1
	v_ashrrev_i32_e32 v15, 31, v14
                                        ; implicit-def: $vgpr10_vgpr11
	s_wait_xcnt 0x0
	s_and_saveexec_b32 s4, s2
	s_delay_alu instid0(SALU_CYCLE_1)
	s_xor_b32 s4, exec_lo, s4
	s_cbranch_execz .LBB22_26
; %bb.25:                               ;   in Loop: Header=BB22_6 Depth=1
	v_lshl_add_u64 v[10:11], v[14:15], 3, s[16:17]
	s_delay_alu instid0(VALU_DEP_1)
	v_add_nc_u64_e32 v[10:11], -8, v[10:11]
	s_or_saveexec_b32 s4, s4
	s_wait_loadcnt 0x0
	v_ashrrev_i32_e32 v13, 31, v12
	s_xor_b32 exec_lo, exec_lo, s4
	s_cbranch_execnz .LBB22_27
	s_branch .LBB22_28
.LBB22_26:                              ;   in Loop: Header=BB22_6 Depth=1
	s_or_saveexec_b32 s4, s4
	s_wait_loadcnt 0x0
	v_ashrrev_i32_e32 v13, 31, v12
	s_xor_b32 exec_lo, exec_lo, s4
.LBB22_27:                              ;   in Loop: Header=BB22_6 Depth=1
	s_delay_alu instid0(VALU_DEP_1) | instskip(NEXT) | instid1(VALU_DEP_1)
	v_add_nc_u64_e32 v[10:11], v[14:15], v[12:13]
	v_lshl_add_u64 v[10:11], v[10:11], 3, s[16:17]
	s_delay_alu instid0(VALU_DEP_1)
	v_add_nc_u64_e32 v[10:11], -8, v[10:11]
.LBB22_28:                              ;   in Loop: Header=BB22_6 Depth=1
	s_or_b32 exec_lo, exec_lo, s4
	global_load_b64 v[10:11], v[10:11], off
	v_mov_b64_e32 v[16:17], 0
	v_mov_b64_e32 v[18:19], 0
	s_mov_b32 s27, exec_lo
	s_wait_xcnt 0x0
	v_cmpx_lt_i32_e64 v34, v12
	s_cbranch_execz .LBB22_34
; %bb.29:                               ;   in Loop: Header=BB22_6 Depth=1
	v_lshl_add_u64 v[18:19], v[14:15], 3, s[20:21]
	v_add_nc_u32_e32 v16, v34, v14
	s_mov_b32 s4, 0
	s_delay_alu instid0(VALU_DEP_2) | instskip(SKIP_1) | instid1(VALU_DEP_2)
	v_lshl_add_u64 v[14:15], v[12:13], 3, v[18:19]
	v_mov_b32_e32 v13, v34
	v_add_nc_u64_e32 v[22:23], -8, v[14:15]
	s_delay_alu instid0(VALU_DEP_1) | instskip(NEXT) | instid1(VALU_DEP_2)
	v_dual_cndmask_b32 v19, v19, v23, s1 :: v_dual_ashrrev_i32 v17, 31, v16
	v_cndmask_b32_e64 v18, v18, v22, s1
	s_delay_alu instid0(VALU_DEP_2) | instskip(SKIP_1) | instid1(VALU_DEP_2)
	v_lshlrev_b64_e32 v[14:15], 3, v[16:17]
	v_mul_lo_u32 v16, s23, v16
	v_add_nc_u64_e32 v[20:21], s[6:7], v[14:15]
.LBB22_30:                              ;   Parent Loop BB22_6 Depth=1
                                        ; =>  This Inner Loop Header: Depth=2
	s_delay_alu instid0(VALU_DEP_2) | instskip(NEXT) | instid1(VALU_DEP_1)
	v_dual_ashrrev_i32 v17, 31, v16 :: v_dual_add_nc_u32 v13, s63, v13
	v_lshl_add_u64 v[22:23], v[16:17], 3, v[18:19]
	v_add_nc_u32_e32 v16, s73, v16
	global_load_b64 v[22:23], v[22:23], off
	s_wait_loadcnt 0x0
	v_div_scale_f64 v[24:25], null, s[18:19], s[18:19], v[22:23]
	v_div_scale_f64 v[30:31], vcc_lo, v[22:23], s[18:19], v[22:23]
	s_delay_alu instid0(VALU_DEP_2) | instskip(SKIP_1) | instid1(TRANS32_DEP_1)
	v_rcp_f64_e32 v[26:27], v[24:25]
	v_nop
	v_fma_f64 v[28:29], -v[24:25], v[26:27], 1.0
	s_delay_alu instid0(VALU_DEP_1) | instskip(NEXT) | instid1(VALU_DEP_1)
	v_fmac_f64_e32 v[26:27], v[26:27], v[28:29]
	v_fma_f64 v[28:29], -v[24:25], v[26:27], 1.0
	s_delay_alu instid0(VALU_DEP_1) | instskip(NEXT) | instid1(VALU_DEP_1)
	v_fmac_f64_e32 v[26:27], v[26:27], v[28:29]
	v_mul_f64_e32 v[28:29], v[30:31], v[26:27]
	s_delay_alu instid0(VALU_DEP_1) | instskip(NEXT) | instid1(VALU_DEP_1)
	v_fma_f64 v[24:25], -v[24:25], v[28:29], v[30:31]
	v_div_fmas_f64 v[24:25], v[24:25], v[26:27], v[28:29]
	v_cmp_ge_i32_e32 vcc_lo, v13, v12
	s_or_b32 s4, vcc_lo, s4
	s_wait_xcnt 0x0
	s_delay_alu instid0(VALU_DEP_2)
	v_div_fixup_f64 v[22:23], v[24:25], s[18:19], v[22:23]
	global_store_b64 v[20:21], v[22:23], off
	s_wait_xcnt 0x0
	v_add_nc_u64_e32 v[20:21], s[34:35], v[20:21]
	s_and_not1_b32 exec_lo, exec_lo, s4
	s_cbranch_execnz .LBB22_30
; %bb.31:                               ;   in Loop: Header=BB22_6 Depth=1
	s_or_b32 exec_lo, exec_lo, s4
	v_mov_b64_e32 v[16:17], 0
	v_mov_b64_e32 v[18:19], 0
	v_mov_b32_e32 v13, v34
	s_mov_b32 s50, 0
.LBB22_32:                              ;   Parent Loop BB22_6 Depth=1
                                        ; =>  This Inner Loop Header: Depth=2
	v_add_nc_u64_e32 v[20:21], s[12:13], v[14:15]
	v_add_nc_u64_e32 v[22:23], s[6:7], v[14:15]
	;; [unrolled: 1-line block ×3, first 2 shown]
	global_load_b64 v[20:21], v[20:21], off
	global_load_b64 v[22:23], v[22:23], off
	s_wait_loadcnt 0x1
	v_cmp_gt_f64_e64 vcc_lo, |v[20:21]|, v[18:19]
	s_wait_loadcnt 0x0
	v_cmp_gt_f64_e64 s4, |v[22:23]|, v[16:17]
	v_and_b32_e32 v24, 0x7fffffff, v21
	v_add_nc_u32_e32 v13, s63, v13
	v_and_b32_e32 v25, 0x7fffffff, v23
	s_delay_alu instid0(VALU_DEP_3) | instskip(NEXT) | instid1(VALU_DEP_3)
	v_cndmask_b32_e32 v19, v19, v24, vcc_lo
	v_cmp_ge_i32_e64 s5, v13, v12
	s_delay_alu instid0(VALU_DEP_3)
	v_dual_cndmask_b32 v17, v17, v25, s4 :: v_dual_cndmask_b32 v18, v18, v20, vcc_lo
	v_cndmask_b32_e64 v16, v16, v22, s4
	s_or_b32 s50, s5, s50
	s_wait_xcnt 0x0
	s_and_not1_b32 exec_lo, exec_lo, s50
	s_cbranch_execnz .LBB22_32
; %bb.33:                               ;   in Loop: Header=BB22_6 Depth=1
	s_or_b32 exec_lo, exec_lo, s50
.LBB22_34:                              ;   in Loop: Header=BB22_6 Depth=1
	s_delay_alu instid0(SALU_CYCLE_1)
	s_or_b32 exec_lo, exec_lo, s27
	s_mov_b32 s5, s63
	ds_store_b64 v32, v[18:19]
	ds_store_b64 v33, v[16:17]
	s_wait_storecnt 0x0
	s_wait_loadcnt_dscnt 0x0
	s_barrier_signal -1
	s_barrier_wait -1
	s_branch .LBB22_36
.LBB22_35:                              ;   in Loop: Header=BB22_36 Depth=2
	s_or_b32 exec_lo, exec_lo, s27
	s_lshr_b32 s4, s5, 1
	s_cmp_gt_u32 s5, 1
	s_mov_b32 s5, s4
	s_wait_dscnt 0x0
	s_barrier_signal -1
	s_barrier_wait -1
	s_cbranch_scc0 .LBB22_38
.LBB22_36:                              ;   Parent Loop BB22_6 Depth=1
                                        ; =>  This Inner Loop Header: Depth=2
	s_mov_b32 s27, exec_lo
	v_cmpx_gt_u32_e64 s5, v0
	s_cbranch_execz .LBB22_35
; %bb.37:                               ;   in Loop: Header=BB22_36 Depth=2
	s_lshl_b32 s4, s5, 3
	s_delay_alu instid0(SALU_CYCLE_1)
	v_dual_add_nc_u32 v12, s4, v32 :: v_dual_add_nc_u32 v14, s4, v33
	ds_load_b64 v[12:13], v12
	ds_load_b64 v[14:15], v14
	s_wait_dscnt 0x1
	v_cmp_gt_f64_e32 vcc_lo, v[12:13], v[18:19]
	s_wait_dscnt 0x0
	v_cmp_gt_f64_e64 s4, v[14:15], v[16:17]
	s_delay_alu instid0(VALU_DEP_1)
	v_dual_cndmask_b32 v19, v19, v13, vcc_lo :: v_dual_cndmask_b32 v17, v17, v15, s4
	v_dual_cndmask_b32 v18, v18, v12, vcc_lo :: v_dual_cndmask_b32 v16, v16, v14, s4
	ds_store_b64 v32, v[18:19]
	ds_store_b64 v33, v[16:17]
	s_branch .LBB22_35
.LBB22_38:                              ;   in Loop: Header=BB22_6 Depth=1
	s_add_nc_u64 s[4:5], s[48:49], s[40:41]
	v_mov_b32_e32 v14, s58
	global_load_b32 v16, v1, s[4:5] offset:8
	s_and_not1_b32 vcc_lo, exec_lo, s65
	ds_load_b64 v[12:13], v1
	ds_load_b64 v[14:15], v14
	s_wait_loadcnt 0x0
	v_readfirstlane_b32 s27, v16
	s_cbranch_vccnz .LBB22_46
; %bb.39:                               ;   in Loop: Header=BB22_6 Depth=1
	s_and_b32 vcc_lo, exec_lo, s72
	s_cbranch_vccz .LBB22_43
; %bb.40:                               ;   in Loop: Header=BB22_6 Depth=1
	s_mov_b32 s48, 0
	s_mov_b32 s50, 0
.LBB22_41:                              ;   Parent Loop BB22_6 Depth=1
                                        ; =>  This Inner Loop Header: Depth=2
	s_ashr_i32 s49, s48, 31
	s_delay_alu instid0(SALU_CYCLE_1)
	s_lshl_b64 s[52:53], s[48:49], 2
	s_add_co_i32 s48, s48, 2
	s_add_nc_u64 s[52:53], s[4:5], s[52:53]
	global_load_b64 v[16:17], v1, s[52:53] offset:12
	s_wait_loadcnt 0x0
	v_readfirstlane_b32 s49, v17
	v_readfirstlane_b32 s51, v16
	s_add_co_i32 s50, s49, s50
	s_add_co_i32 s27, s51, s27
	s_cmp_lg_u32 s74, s48
	s_cbranch_scc1 .LBB22_41
; %bb.42:                               ;   in Loop: Header=BB22_6 Depth=1
	s_add_co_i32 s27, s27, s50
	s_mov_b32 s48, s24
	s_branch .LBB22_44
.LBB22_43:                              ;   in Loop: Header=BB22_6 Depth=1
	s_mov_b32 s48, 1
.LBB22_44:                              ;   in Loop: Header=BB22_6 Depth=1
	s_delay_alu instid0(SALU_CYCLE_1) | instskip(NEXT) | instid1(SALU_CYCLE_1)
	s_ashr_i32 s49, s48, 31
	s_lshl_b64 s[4:5], s[48:49], 2
	s_delay_alu instid0(SALU_CYCLE_1)
	s_add_nc_u64 s[4:5], s[46:47], s[4:5]
	s_sub_co_i32 s46, s62, s48
	s_add_nc_u64 s[4:5], s[10:11], s[4:5]
.LBB22_45:                              ;   Parent Loop BB22_6 Depth=1
                                        ; =>  This Inner Loop Header: Depth=2
	global_load_b32 v16, v1, s[4:5]
	s_add_co_i32 s46, s46, -1
	s_wait_xcnt 0x0
	s_add_nc_u64 s[4:5], s[4:5], 4
	s_wait_loadcnt 0x0
	v_readfirstlane_b32 s47, v16
	s_add_co_i32 s27, s47, s27
	s_cmp_eq_u32 s46, 0
	s_cbranch_scc0 .LBB22_45
.LBB22_46:                              ;   in Loop: Header=BB22_6 Depth=1
	s_add_nc_u64 s[4:5], s[44:45], s[40:41]
	s_wait_dscnt 0x0
	v_cmp_gt_f64_e32 vcc_lo, v[14:15], v[12:13]
	global_load_b32 v16, v1, s[4:5] offset:8
	v_add_f64_e32 v[10:11], v[10:11], v[10:11]
	s_wait_xcnt 0x0
	s_mov_b32 s4, exec_lo
	v_dual_cndmask_b32 v13, v13, v15 :: v_dual_cndmask_b32 v12, v12, v14
	s_delay_alu instid0(VALU_DEP_1)
	v_mul_f64_e32 v[12:13], v[2:3], v[12:13]
	s_wait_loadcnt 0x0
	v_readfirstlane_b32 s44, v16
	v_cmpx_gt_i32_e64 s27, v0
	s_cbranch_execz .LBB22_49
; %bb.47:                               ;   in Loop: Header=BB22_6 Depth=1
	v_mov_b32_e32 v14, v0
	s_mov_b32 s5, 0
.LBB22_48:                              ;   Parent Loop BB22_6 Depth=1
                                        ; =>  This Inner Loop Header: Depth=2
	s_delay_alu instid0(VALU_DEP_1)
	v_dual_add_nc_u32 v15, s44, v14 :: v_dual_add_nc_u32 v14, s33, v14
	global_load_b64 v[16:17], v15, s[6:7] scale_offset
	v_cmp_le_i32_e32 vcc_lo, s27, v14
	s_or_b32 s5, vcc_lo, s5
	s_wait_loadcnt 0x0
	v_mul_f64_e32 v[16:17], v[10:11], v[16:17]
	s_delay_alu instid0(VALU_DEP_1) | instskip(NEXT) | instid1(VALU_DEP_1)
	v_cmp_nle_f64_e64 s45, |v[16:17]|, v[12:13]
	v_cndmask_b32_e64 v16, 0, 1, s45
	global_store_b32 v15, v16, s[36:37] offset:8 scale_offset
	s_wait_xcnt 0x0
	s_and_not1_b32 exec_lo, exec_lo, s5
	s_cbranch_execnz .LBB22_48
.LBB22_49:                              ;   in Loop: Header=BB22_6 Depth=1
	s_or_b32 exec_lo, exec_lo, s4
	s_and_b32 s4, s27, 0x80000001
	s_wait_storecnt 0x0
	s_cmp_eq_u32 s4, 1
	s_barrier_signal -1
	s_cselect_b32 s4, -1, 0
	s_barrier_wait -1
	s_cmp_lg_u32 s4, 0
	s_add_co_ci_u32 s45, s27, 0
	s_delay_alu instid0(SALU_CYCLE_1)
	s_cmp_lt_i32 s45, 2
	s_cbranch_scc1 .LBB22_87
; %bb.50:                               ;   in Loop: Header=BB22_6 Depth=1
	s_lshr_b32 s4, s45, 31
	s_add_co_i32 s47, s45, -1
	s_add_co_i32 s4, s45, s4
	s_add_co_i32 s49, s45, -2
	s_ashr_i32 s46, s4, 1
	s_mov_b32 s50, 0
	v_cmp_gt_i32_e64 s4, s46, v0
	s_add_co_i32 s48, s46, -1
	s_branch .LBB22_52
.LBB22_51:                              ;   in Loop: Header=BB22_52 Depth=2
	s_or_b32 exec_lo, exec_lo, s51
	s_add_co_i32 s50, s50, 1
	s_delay_alu instid0(SALU_CYCLE_1)
	s_cmp_eq_u32 s50, s47
	s_cbranch_scc1 .LBB22_87
.LBB22_52:                              ;   Parent Loop BB22_6 Depth=1
                                        ; =>  This Loop Header: Depth=2
                                        ;       Child Loop BB22_55 Depth 3
                                        ;         Child Loop BB22_86 Depth 4
	s_and_saveexec_b32 s51, s4
	s_cbranch_execz .LBB22_51
; %bb.53:                               ;   in Loop: Header=BB22_52 Depth=2
	v_mov_b32_e32 v35, v0
	s_mov_b32 s52, 0
	s_branch .LBB22_55
.LBB22_54:                              ;   in Loop: Header=BB22_55 Depth=3
	s_wait_xcnt 0x0
	s_or_b32 exec_lo, exec_lo, s53
	v_add_nc_u32_e32 v35, s33, v35
	s_wait_storecnt 0x0
	s_barrier_signal -1
	s_barrier_wait -1
	s_delay_alu instid0(VALU_DEP_1) | instskip(SKIP_1) | instid1(SALU_CYCLE_1)
	v_cmp_le_i32_e32 vcc_lo, s46, v35
	s_or_b32 s52, vcc_lo, s52
	s_and_not1_b32 exec_lo, exec_lo, s52
	s_cbranch_execz .LBB22_51
.LBB22_55:                              ;   Parent Loop BB22_6 Depth=1
                                        ;     Parent Loop BB22_52 Depth=2
                                        ; =>    This Loop Header: Depth=3
                                        ;         Child Loop BB22_86 Depth 4
	v_mov_b32_e32 v15, 0
	s_mov_b32 s5, exec_lo
	v_cmpx_ne_u32_e32 0, v35
	s_cbranch_execz .LBB22_63
; %bb.56:                               ;   in Loop: Header=BB22_55 Depth=3
	v_subrev_nc_u32_e32 v14, s50, v35
	s_mov_b32 s53, exec_lo
	s_delay_alu instid0(VALU_DEP_1)
	v_lshlrev_b32_e32 v15, 1, v14
	v_cmpx_ge_u32_e64 s50, v35
	s_cbranch_execz .LBB22_62
; %bb.57:                               ;   in Loop: Header=BB22_55 Depth=3
	v_add_nc_u32_e32 v16, s48, v35
	s_mov_b32 s54, exec_lo
	s_delay_alu instid0(VALU_DEP_1)
	v_cmpx_le_i32_e64 s50, v16
	s_xor_b32 s54, exec_lo, s54
; %bb.58:                               ;   in Loop: Header=BB22_55 Depth=3
	v_sub_nc_u32_e32 v15, 1, v15
                                        ; implicit-def: $vgpr14
; %bb.59:                               ;   in Loop: Header=BB22_55 Depth=3
	s_and_not1_saveexec_b32 s54, s54
; %bb.60:                               ;   in Loop: Header=BB22_55 Depth=3
	v_add_lshl_u32 v15, v14, s47, 1
; %bb.61:                               ;   in Loop: Header=BB22_55 Depth=3
	s_or_b32 exec_lo, exec_lo, s54
.LBB22_62:                              ;   in Loop: Header=BB22_55 Depth=3
	s_delay_alu instid0(SALU_CYCLE_1)
	s_or_b32 exec_lo, exec_lo, s53
.LBB22_63:                              ;   in Loop: Header=BB22_55 Depth=3
	s_delay_alu instid0(SALU_CYCLE_1) | instskip(SKIP_1) | instid1(VALU_DEP_1)
	s_or_b32 exec_lo, exec_lo, s5
	v_dual_sub_nc_u32 v16, s46, v35 :: v_dual_add_nc_u32 v14, s50, v35
	v_cmp_ge_i32_e32 vcc_lo, s50, v16
                                        ; implicit-def: $vgpr16
	s_and_saveexec_b32 s5, vcc_lo
	s_delay_alu instid0(SALU_CYCLE_1)
	s_xor_b32 s5, exec_lo, s5
	s_cbranch_execz .LBB22_69
; %bb.64:                               ;   in Loop: Header=BB22_55 Depth=3
	v_sub_nc_u32_e32 v16, s49, v35
	s_delay_alu instid0(VALU_DEP_1) | instskip(SKIP_1) | instid1(SALU_CYCLE_1)
	v_cmp_le_i32_e32 vcc_lo, s50, v16
                                        ; implicit-def: $vgpr16
	s_and_saveexec_b32 s53, vcc_lo
	s_xor_b32 s53, exec_lo, s53
; %bb.65:                               ;   in Loop: Header=BB22_55 Depth=3
	v_sub_nc_u32_e32 v14, s47, v14
	s_delay_alu instid0(VALU_DEP_1)
	v_lshlrev_b32_e32 v16, 1, v14
                                        ; implicit-def: $vgpr14
; %bb.66:                               ;   in Loop: Header=BB22_55 Depth=3
	s_and_not1_saveexec_b32 s53, s53
; %bb.67:                               ;   in Loop: Header=BB22_55 Depth=3
	v_subrev_nc_u32_e32 v14, s45, v14
	s_delay_alu instid0(VALU_DEP_1)
	v_lshl_add_u32 v16, v14, 1, 3
; %bb.68:                               ;   in Loop: Header=BB22_55 Depth=3
	s_or_b32 exec_lo, exec_lo, s53
                                        ; implicit-def: $vgpr14
.LBB22_69:                              ;   in Loop: Header=BB22_55 Depth=3
	s_and_not1_saveexec_b32 s5, s5
; %bb.70:                               ;   in Loop: Header=BB22_55 Depth=3
	v_lshl_or_b32 v16, v14, 1, 1
; %bb.71:                               ;   in Loop: Header=BB22_55 Depth=3
	s_or_b32 exec_lo, exec_lo, s5
	s_delay_alu instid0(VALU_DEP_1) | instskip(SKIP_1) | instid1(VALU_DEP_1)
	v_min_i32_e32 v14, v15, v16
	s_mov_b32 s53, exec_lo
	v_add_nc_u32_e32 v14, s44, v14
	global_load_b32 v17, v14, s[36:37] offset:8 scale_offset
	s_wait_loadcnt 0x0
	v_cmpx_eq_u32_e32 1, v17
	s_cbranch_execz .LBB22_54
; %bb.72:                               ;   in Loop: Header=BB22_55 Depth=3
	v_max_i32_e32 v15, v15, v16
	s_delay_alu instid0(VALU_DEP_1)
	v_add_nc_u32_e32 v16, s44, v15
	v_cmp_gt_i32_e64 s5, s27, v15
	global_load_b32 v17, v16, s[36:37] offset:8 scale_offset
	s_wait_loadcnt 0x0
	v_cmp_eq_u32_e32 vcc_lo, 1, v17
	s_and_b32 s5, vcc_lo, s5
	s_delay_alu instid0(SALU_CYCLE_1)
	s_and_b32 exec_lo, exec_lo, s5
	s_cbranch_execz .LBB22_54
; %bb.73:                               ;   in Loop: Header=BB22_55 Depth=3
	v_dual_ashrrev_i32 v15, 31, v14 :: v_dual_ashrrev_i32 v17, 31, v16
	s_delay_alu instid0(VALU_DEP_1) | instskip(NEXT) | instid1(VALU_DEP_2)
	v_lshl_add_u64 v[18:19], v[14:15], 3, s[12:13]
	v_lshl_add_u64 v[20:21], v[16:17], 3, s[12:13]
	s_clause 0x1
	global_load_b64 v[18:19], v[18:19], off
	global_load_b64 v[20:21], v[20:21], off
	s_wait_loadcnt 0x0
	v_add_f64_e64 v[18:19], v[18:19], -v[20:21]
	s_delay_alu instid0(VALU_DEP_1)
	v_cmp_le_f64_e64 s5, |v[18:19]|, v[12:13]
	s_and_b32 exec_lo, exec_lo, s5
	s_cbranch_execz .LBB22_54
; %bb.74:                               ;   in Loop: Header=BB22_55 Depth=3
	v_lshl_add_u64 v[18:19], v[16:17], 3, s[6:7]
	v_lshl_add_u64 v[20:21], v[14:15], 3, s[6:7]
	v_mov_b64_e32 v[26:27], 0
	v_mov_b64_e32 v[28:29], 1.0
	v_lshl_add_u64 v[30:31], v[16:17], 2, s[36:37]
	s_clause 0x1
	global_load_b64 v[24:25], v[18:19], off
	global_load_b64 v[22:23], v[20:21], off
	s_mov_b32 s5, exec_lo
	global_store_b32 v[30:31], v1, off offset:8
	s_wait_loadcnt 0x1
	s_wait_xcnt 0x0
	v_cmpx_neq_f64_e32 0, v[24:25]
	s_cbranch_execz .LBB22_84
; %bb.75:                               ;   in Loop: Header=BB22_55 Depth=3
	v_xor_b32_e32 v31, 0x80000000, v25
	v_mov_b32_e32 v30, v24
	s_mov_b32 s54, exec_lo
                                        ; implicit-def: $vgpr26_vgpr27
                                        ; implicit-def: $vgpr28_vgpr29
	s_wait_loadcnt 0x0
	v_cmpx_neq_f64_e32 0, v[22:23]
	s_xor_b32 s54, exec_lo, s54
	s_cbranch_execz .LBB22_81
; %bb.76:                               ;   in Loop: Header=BB22_55 Depth=3
	v_cmp_ngt_f64_e64 s55, |v[24:25]|, |v[22:23]|
                                        ; implicit-def: $vgpr26_vgpr27
                                        ; implicit-def: $vgpr28_vgpr29
	s_and_saveexec_b32 s56, s55
	s_delay_alu instid0(SALU_CYCLE_1)
	s_xor_b32 s55, exec_lo, s56
	s_cbranch_execz .LBB22_78
; %bb.77:                               ;   in Loop: Header=BB22_55 Depth=3
	v_div_scale_f64 v[26:27], null, v[22:23], v[22:23], -v[24:25]
	v_div_scale_f64 v[36:37], vcc_lo, -v[24:25], v[22:23], -v[24:25]
	s_delay_alu instid0(VALU_DEP_2) | instskip(SKIP_1) | instid1(TRANS32_DEP_1)
	v_rcp_f64_e32 v[28:29], v[26:27]
	v_nop
	v_fma_f64 v[30:31], -v[26:27], v[28:29], 1.0
	s_delay_alu instid0(VALU_DEP_1) | instskip(NEXT) | instid1(VALU_DEP_1)
	v_fmac_f64_e32 v[28:29], v[28:29], v[30:31]
	v_fma_f64 v[30:31], -v[26:27], v[28:29], 1.0
	s_delay_alu instid0(VALU_DEP_1) | instskip(NEXT) | instid1(VALU_DEP_1)
	v_fmac_f64_e32 v[28:29], v[28:29], v[30:31]
	v_mul_f64_e32 v[30:31], v[36:37], v[28:29]
	s_delay_alu instid0(VALU_DEP_1) | instskip(NEXT) | instid1(VALU_DEP_1)
	v_fma_f64 v[26:27], -v[26:27], v[30:31], v[36:37]
	v_div_fmas_f64 v[26:27], v[26:27], v[28:29], v[30:31]
	s_delay_alu instid0(VALU_DEP_1) | instskip(NEXT) | instid1(VALU_DEP_1)
	v_div_fixup_f64 v[26:27], v[26:27], v[22:23], -v[24:25]
	v_fma_f64 v[28:29], v[26:27], v[26:27], 1.0
	s_delay_alu instid0(VALU_DEP_1) | instskip(SKIP_1) | instid1(VALU_DEP_1)
	v_cmp_gt_f64_e32 vcc_lo, 0x10000000, v[28:29]
	v_cndmask_b32_e64 v15, 0, 0x100, vcc_lo
	v_ldexp_f64 v[28:29], v[28:29], v15
	v_cndmask_b32_e64 v15, 0, 0xffffff80, vcc_lo
	s_delay_alu instid0(VALU_DEP_2) | instskip(SKIP_1) | instid1(TRANS32_DEP_1)
	v_rsq_f64_e32 v[30:31], v[28:29]
	v_cmp_class_f64_e64 vcc_lo, v[28:29], 0x260
	v_mul_f64_e32 v[36:37], v[28:29], v[30:31]
	v_mul_f64_e32 v[30:31], 0.5, v[30:31]
	s_delay_alu instid0(VALU_DEP_1) | instskip(NEXT) | instid1(VALU_DEP_1)
	v_fma_f64 v[38:39], -v[30:31], v[36:37], 0.5
	v_fmac_f64_e32 v[36:37], v[36:37], v[38:39]
	v_fmac_f64_e32 v[30:31], v[30:31], v[38:39]
	s_delay_alu instid0(VALU_DEP_2) | instskip(NEXT) | instid1(VALU_DEP_1)
	v_fma_f64 v[38:39], -v[36:37], v[36:37], v[28:29]
	v_fmac_f64_e32 v[36:37], v[38:39], v[30:31]
	s_delay_alu instid0(VALU_DEP_1) | instskip(NEXT) | instid1(VALU_DEP_1)
	v_fma_f64 v[38:39], -v[36:37], v[36:37], v[28:29]
	v_fmac_f64_e32 v[36:37], v[38:39], v[30:31]
	s_delay_alu instid0(VALU_DEP_1) | instskip(NEXT) | instid1(VALU_DEP_1)
	v_ldexp_f64 v[30:31], v[36:37], v15
	v_dual_cndmask_b32 v29, v31, v29 :: v_dual_cndmask_b32 v28, v30, v28
	s_delay_alu instid0(VALU_DEP_1) | instskip(NEXT) | instid1(VALU_DEP_1)
	v_div_scale_f64 v[30:31], null, v[28:29], v[28:29], 1.0
	v_rcp_f64_e32 v[36:37], v[30:31]
	v_nop
	s_delay_alu instid0(TRANS32_DEP_1) | instskip(NEXT) | instid1(VALU_DEP_1)
	v_fma_f64 v[38:39], -v[30:31], v[36:37], 1.0
	v_fmac_f64_e32 v[36:37], v[36:37], v[38:39]
	s_delay_alu instid0(VALU_DEP_1) | instskip(NEXT) | instid1(VALU_DEP_1)
	v_fma_f64 v[38:39], -v[30:31], v[36:37], 1.0
	v_fmac_f64_e32 v[36:37], v[36:37], v[38:39]
	v_div_scale_f64 v[38:39], vcc_lo, 1.0, v[28:29], 1.0
	s_delay_alu instid0(VALU_DEP_1) | instskip(NEXT) | instid1(VALU_DEP_1)
	v_mul_f64_e32 v[40:41], v[38:39], v[36:37]
	v_fma_f64 v[30:31], -v[30:31], v[40:41], v[38:39]
	s_delay_alu instid0(VALU_DEP_1) | instskip(NEXT) | instid1(VALU_DEP_1)
	v_div_fmas_f64 v[30:31], v[30:31], v[36:37], v[40:41]
	v_div_fixup_f64 v[28:29], v[30:31], v[28:29], 1.0
	s_delay_alu instid0(VALU_DEP_1)
	v_mul_f64_e32 v[26:27], v[26:27], v[28:29]
.LBB22_78:                              ;   in Loop: Header=BB22_55 Depth=3
	s_and_not1_saveexec_b32 s55, s55
	s_cbranch_execz .LBB22_80
; %bb.79:                               ;   in Loop: Header=BB22_55 Depth=3
	v_div_scale_f64 v[26:27], null, v[24:25], v[24:25], -v[22:23]
	v_div_scale_f64 v[36:37], vcc_lo, -v[22:23], v[24:25], -v[22:23]
	s_delay_alu instid0(VALU_DEP_2) | instskip(SKIP_1) | instid1(TRANS32_DEP_1)
	v_rcp_f64_e32 v[28:29], v[26:27]
	v_nop
	v_fma_f64 v[30:31], -v[26:27], v[28:29], 1.0
	s_delay_alu instid0(VALU_DEP_1) | instskip(NEXT) | instid1(VALU_DEP_1)
	v_fmac_f64_e32 v[28:29], v[28:29], v[30:31]
	v_fma_f64 v[30:31], -v[26:27], v[28:29], 1.0
	s_delay_alu instid0(VALU_DEP_1) | instskip(NEXT) | instid1(VALU_DEP_1)
	v_fmac_f64_e32 v[28:29], v[28:29], v[30:31]
	v_mul_f64_e32 v[30:31], v[36:37], v[28:29]
	s_delay_alu instid0(VALU_DEP_1) | instskip(NEXT) | instid1(VALU_DEP_1)
	v_fma_f64 v[26:27], -v[26:27], v[30:31], v[36:37]
	v_div_fmas_f64 v[26:27], v[26:27], v[28:29], v[30:31]
	s_delay_alu instid0(VALU_DEP_1) | instskip(NEXT) | instid1(VALU_DEP_1)
	v_div_fixup_f64 v[28:29], v[26:27], v[24:25], -v[22:23]
	v_fma_f64 v[26:27], v[28:29], v[28:29], 1.0
	s_delay_alu instid0(VALU_DEP_1) | instskip(SKIP_1) | instid1(VALU_DEP_1)
	v_cmp_gt_f64_e32 vcc_lo, 0x10000000, v[26:27]
	v_cndmask_b32_e64 v15, 0, 0x100, vcc_lo
	v_ldexp_f64 v[26:27], v[26:27], v15
	v_cndmask_b32_e64 v15, 0, 0xffffff80, vcc_lo
	s_delay_alu instid0(VALU_DEP_2) | instskip(SKIP_1) | instid1(TRANS32_DEP_1)
	v_rsq_f64_e32 v[30:31], v[26:27]
	v_cmp_class_f64_e64 vcc_lo, v[26:27], 0x260
	v_mul_f64_e32 v[36:37], v[26:27], v[30:31]
	v_mul_f64_e32 v[30:31], 0.5, v[30:31]
	s_delay_alu instid0(VALU_DEP_1) | instskip(NEXT) | instid1(VALU_DEP_1)
	v_fma_f64 v[38:39], -v[30:31], v[36:37], 0.5
	v_fmac_f64_e32 v[36:37], v[36:37], v[38:39]
	v_fmac_f64_e32 v[30:31], v[30:31], v[38:39]
	s_delay_alu instid0(VALU_DEP_2) | instskip(NEXT) | instid1(VALU_DEP_1)
	v_fma_f64 v[38:39], -v[36:37], v[36:37], v[26:27]
	v_fmac_f64_e32 v[36:37], v[38:39], v[30:31]
	s_delay_alu instid0(VALU_DEP_1) | instskip(NEXT) | instid1(VALU_DEP_1)
	v_fma_f64 v[38:39], -v[36:37], v[36:37], v[26:27]
	v_fmac_f64_e32 v[36:37], v[38:39], v[30:31]
	s_delay_alu instid0(VALU_DEP_1) | instskip(NEXT) | instid1(VALU_DEP_1)
	v_ldexp_f64 v[30:31], v[36:37], v15
	v_dual_cndmask_b32 v27, v31, v27 :: v_dual_cndmask_b32 v26, v30, v26
	s_delay_alu instid0(VALU_DEP_1) | instskip(NEXT) | instid1(VALU_DEP_1)
	v_div_scale_f64 v[30:31], null, v[26:27], v[26:27], 1.0
	v_rcp_f64_e32 v[36:37], v[30:31]
	v_nop
	s_delay_alu instid0(TRANS32_DEP_1) | instskip(NEXT) | instid1(VALU_DEP_1)
	v_fma_f64 v[38:39], -v[30:31], v[36:37], 1.0
	v_fmac_f64_e32 v[36:37], v[36:37], v[38:39]
	s_delay_alu instid0(VALU_DEP_1) | instskip(NEXT) | instid1(VALU_DEP_1)
	v_fma_f64 v[38:39], -v[30:31], v[36:37], 1.0
	v_fmac_f64_e32 v[36:37], v[36:37], v[38:39]
	v_div_scale_f64 v[38:39], vcc_lo, 1.0, v[26:27], 1.0
	s_delay_alu instid0(VALU_DEP_1) | instskip(NEXT) | instid1(VALU_DEP_1)
	v_mul_f64_e32 v[40:41], v[38:39], v[36:37]
	v_fma_f64 v[30:31], -v[30:31], v[40:41], v[38:39]
	s_delay_alu instid0(VALU_DEP_1) | instskip(NEXT) | instid1(VALU_DEP_1)
	v_div_fmas_f64 v[30:31], v[30:31], v[36:37], v[40:41]
	v_div_fixup_f64 v[26:27], v[30:31], v[26:27], 1.0
	s_delay_alu instid0(VALU_DEP_1)
	v_mul_f64_e32 v[28:29], v[28:29], v[26:27]
.LBB22_80:                              ;   in Loop: Header=BB22_55 Depth=3
	s_or_b32 exec_lo, exec_lo, s55
	s_delay_alu instid0(VALU_DEP_1) | instskip(NEXT) | instid1(VALU_DEP_1)
	v_mul_f64_e32 v[24:25], v[24:25], v[26:27]
	v_fma_f64 v[30:31], v[22:23], v[28:29], -v[24:25]
.LBB22_81:                              ;   in Loop: Header=BB22_55 Depth=3
	s_and_not1_saveexec_b32 s54, s54
; %bb.82:                               ;   in Loop: Header=BB22_55 Depth=3
	v_mov_b64_e32 v[28:29], 0
	v_mov_b64_e32 v[26:27], 1.0
; %bb.83:                               ;   in Loop: Header=BB22_55 Depth=3
	s_or_b32 exec_lo, exec_lo, s54
	s_delay_alu instid0(VALU_DEP_3)
	v_mov_b64_e32 v[22:23], v[30:31]
.LBB22_84:                              ;   in Loop: Header=BB22_55 Depth=3
	s_or_b32 exec_lo, exec_lo, s5
	s_delay_alu instid0(SALU_CYCLE_1)
	s_and_not1_b32 vcc_lo, exec_lo, s66
	s_wait_loadcnt 0x0
	s_clause 0x1
	global_store_b64 v[20:21], v[22:23], off
	global_store_b64 v[18:19], v[8:9], off
	s_cbranch_vccnz .LBB22_54
; %bb.85:                               ;   in Loop: Header=BB22_55 Depth=3
	v_mul_lo_u32 v16, v16, s23
	s_wait_xcnt 0x0
	v_mul_lo_u32 v18, v14, s23
	s_mov_b32 s5, s25
	s_delay_alu instid0(VALU_DEP_1) | instskip(NEXT) | instid1(VALU_DEP_1)
	v_dual_ashrrev_i32 v17, 31, v16 :: v_dual_ashrrev_i32 v19, 31, v18
	v_lshl_add_u64 v[14:15], v[16:17], 3, s[20:21]
	s_delay_alu instid0(VALU_DEP_2)
	v_lshl_add_u64 v[16:17], v[18:19], 3, s[20:21]
.LBB22_86:                              ;   Parent Loop BB22_6 Depth=1
                                        ;     Parent Loop BB22_52 Depth=2
                                        ;       Parent Loop BB22_55 Depth=3
                                        ; =>      This Inner Loop Header: Depth=4
	global_load_b64 v[18:19], v[14:15], off
	global_load_b64 v[20:21], v[16:17], off
	s_add_co_i32 s5, s5, -1
	s_delay_alu instid0(SALU_CYCLE_1) | instskip(SKIP_4) | instid1(VALU_DEP_2)
	s_cmp_lg_u32 s5, 0
	s_wait_loadcnt 0x1
	v_mul_f64_e32 v[22:23], v[26:27], v[18:19]
	v_mul_f64_e32 v[18:19], v[28:29], v[18:19]
	s_wait_loadcnt 0x0
	v_fma_f64 v[22:23], v[28:29], v[20:21], -v[22:23]
	s_delay_alu instid0(VALU_DEP_2)
	v_fmac_f64_e32 v[18:19], v[26:27], v[20:21]
	global_store_b64 v[16:17], v[22:23], off
	global_store_b64 v[14:15], v[18:19], off
	s_wait_xcnt 0x0
	v_add_nc_u64_e32 v[14:15], 8, v[14:15]
	v_add_nc_u64_e32 v[16:17], 8, v[16:17]
	s_cbranch_scc1 .LBB22_86
	s_branch .LBB22_54
.LBB22_87:                              ;   in Loop: Header=BB22_6 Depth=1
	s_cmp_lt_i32 s27, 1
	s_cbranch_scc1 .LBB22_5
; %bb.88:                               ;   in Loop: Header=BB22_6 Depth=1
	v_cmp_gt_f64_e64 s4, 0, v[10:11]
	s_mul_i32 s46, s44, s25
	s_ashr_i32 s45, s44, 31
	s_ashr_i32 s47, s46, 31
	s_lshl_b64 s[50:51], s[44:45], 3
	s_lshl_b64 s[46:47], s[46:47], 3
	;; [unrolled: 1-line block ×3, first 2 shown]
	s_add_nc_u64 s[44:45], s[6:7], s[50:51]
	s_add_nc_u64 s[46:47], s[8:9], s[46:47]
	;; [unrolled: 1-line block ×5, first 2 shown]
	s_mov_b32 s5, 0
	s_mov_b64 s[54:55], s[44:45]
	s_mov_b32 s56, 0
	s_branch .LBB22_91
.LBB22_89:                              ;   in Loop: Header=BB22_91 Depth=2
	s_wait_xcnt 0x0
	s_or_b32 exec_lo, exec_lo, s75
	s_add_co_i32 s56, s56, 1
.LBB22_90:                              ;   in Loop: Header=BB22_91 Depth=2
	s_add_co_i32 s5, s5, 1
	s_wait_xcnt 0x0
	s_add_nc_u64 s[52:53], s[52:53], 4
	s_add_nc_u64 s[48:49], s[48:49], 8
	s_cmp_lg_u32 s27, s5
	s_add_nc_u64 s[54:55], s[54:55], 8
	s_cbranch_scc0 .LBB22_5
.LBB22_91:                              ;   Parent Loop BB22_6 Depth=1
                                        ; =>  This Inner Loop Header: Depth=2
	global_load_b32 v10, v1, s[52:53]
	s_wait_loadcnt 0x0
	v_cmp_ne_u32_e32 vcc_lo, 1, v10
	s_cbranch_vccnz .LBB22_90
; %bb.92:                               ;   in Loop: Header=BB22_91 Depth=2
	s_wait_xcnt 0x0
	s_and_saveexec_b32 s75, s0
	s_cbranch_execz .LBB22_89
; %bb.93:                               ;   in Loop: Header=BB22_91 Depth=2
	global_load_b64 v[10:11], v1, s[48:49]
	v_dual_mov_b32 v13, s56 :: v_dual_mov_b32 v14, s5
	s_cmp_eq_u32 s5, s56
	s_wait_loadcnt 0x0
	v_xor_b32_e32 v12, 0x80000000, v11
	s_delay_alu instid0(VALU_DEP_1)
	v_cndmask_b32_e64 v11, v11, v12, s4
	s_clause 0x1
	global_store_b32 v13, v14, s[50:51] offset:8 scale_offset
	global_store_b64 v13, v[10:11], s[46:47] scale_offset
	s_cbranch_scc1 .LBB22_89
; %bb.94:                               ;   in Loop: Header=BB22_91 Depth=2
	global_load_b64 v[10:11], v1, s[54:55]
	s_ashr_i32 s57, s56, 31
	s_delay_alu instid0(SALU_CYCLE_1) | instskip(NEXT) | instid1(SALU_CYCLE_1)
	s_lshl_b64 s[76:77], s[56:57], 3
	s_add_nc_u64 s[76:77], s[44:45], s[76:77]
	s_wait_loadcnt 0x0
	global_store_b64 v1, v[10:11], s[76:77]
	s_branch .LBB22_89
.LBB22_95:
	s_endpgm
.LBB22_96:
	s_mov_b32 s41, -1
                                        ; implicit-def: $sgpr20_sgpr21
	s_branch .LBB22_2
	.section	.rodata,"a",@progbits
	.p2align	6, 0x0
	.amdhsa_kernel _ZN9rocsolver6v33100L26stedcx_mergePrepare_kernelIdEEviiPT_lS3_lS3_iilS3_S3_PiS2_
		.amdhsa_group_segment_fixed_size 0
		.amdhsa_private_segment_fixed_size 0
		.amdhsa_kernarg_size 352
		.amdhsa_user_sgpr_count 2
		.amdhsa_user_sgpr_dispatch_ptr 0
		.amdhsa_user_sgpr_queue_ptr 0
		.amdhsa_user_sgpr_kernarg_segment_ptr 1
		.amdhsa_user_sgpr_dispatch_id 0
		.amdhsa_user_sgpr_kernarg_preload_length 0
		.amdhsa_user_sgpr_kernarg_preload_offset 0
		.amdhsa_user_sgpr_private_segment_size 0
		.amdhsa_wavefront_size32 1
		.amdhsa_uses_dynamic_stack 0
		.amdhsa_enable_private_segment 0
		.amdhsa_system_sgpr_workgroup_id_x 1
		.amdhsa_system_sgpr_workgroup_id_y 1
		.amdhsa_system_sgpr_workgroup_id_z 1
		.amdhsa_system_sgpr_workgroup_info 0
		.amdhsa_system_vgpr_workitem_id 0
		.amdhsa_next_free_vgpr 42
		.amdhsa_next_free_sgpr 78
		.amdhsa_named_barrier_count 0
		.amdhsa_reserve_vcc 1
		.amdhsa_float_round_mode_32 0
		.amdhsa_float_round_mode_16_64 0
		.amdhsa_float_denorm_mode_32 3
		.amdhsa_float_denorm_mode_16_64 3
		.amdhsa_fp16_overflow 0
		.amdhsa_memory_ordered 1
		.amdhsa_forward_progress 1
		.amdhsa_inst_pref_size 36
		.amdhsa_round_robin_scheduling 0
		.amdhsa_exception_fp_ieee_invalid_op 0
		.amdhsa_exception_fp_denorm_src 0
		.amdhsa_exception_fp_ieee_div_zero 0
		.amdhsa_exception_fp_ieee_overflow 0
		.amdhsa_exception_fp_ieee_underflow 0
		.amdhsa_exception_fp_ieee_inexact 0
		.amdhsa_exception_int_div_zero 0
	.end_amdhsa_kernel
	.section	.text._ZN9rocsolver6v33100L26stedcx_mergePrepare_kernelIdEEviiPT_lS3_lS3_iilS3_S3_PiS2_,"axG",@progbits,_ZN9rocsolver6v33100L26stedcx_mergePrepare_kernelIdEEviiPT_lS3_lS3_iilS3_S3_PiS2_,comdat
.Lfunc_end22:
	.size	_ZN9rocsolver6v33100L26stedcx_mergePrepare_kernelIdEEviiPT_lS3_lS3_iilS3_S3_PiS2_, .Lfunc_end22-_ZN9rocsolver6v33100L26stedcx_mergePrepare_kernelIdEEviiPT_lS3_lS3_iilS3_S3_PiS2_
                                        ; -- End function
	.set _ZN9rocsolver6v33100L26stedcx_mergePrepare_kernelIdEEviiPT_lS3_lS3_iilS3_S3_PiS2_.num_vgpr, 42
	.set _ZN9rocsolver6v33100L26stedcx_mergePrepare_kernelIdEEviiPT_lS3_lS3_iilS3_S3_PiS2_.num_agpr, 0
	.set _ZN9rocsolver6v33100L26stedcx_mergePrepare_kernelIdEEviiPT_lS3_lS3_iilS3_S3_PiS2_.numbered_sgpr, 78
	.set _ZN9rocsolver6v33100L26stedcx_mergePrepare_kernelIdEEviiPT_lS3_lS3_iilS3_S3_PiS2_.num_named_barrier, 0
	.set _ZN9rocsolver6v33100L26stedcx_mergePrepare_kernelIdEEviiPT_lS3_lS3_iilS3_S3_PiS2_.private_seg_size, 0
	.set _ZN9rocsolver6v33100L26stedcx_mergePrepare_kernelIdEEviiPT_lS3_lS3_iilS3_S3_PiS2_.uses_vcc, 1
	.set _ZN9rocsolver6v33100L26stedcx_mergePrepare_kernelIdEEviiPT_lS3_lS3_iilS3_S3_PiS2_.uses_flat_scratch, 0
	.set _ZN9rocsolver6v33100L26stedcx_mergePrepare_kernelIdEEviiPT_lS3_lS3_iilS3_S3_PiS2_.has_dyn_sized_stack, 0
	.set _ZN9rocsolver6v33100L26stedcx_mergePrepare_kernelIdEEviiPT_lS3_lS3_iilS3_S3_PiS2_.has_recursion, 0
	.set _ZN9rocsolver6v33100L26stedcx_mergePrepare_kernelIdEEviiPT_lS3_lS3_iilS3_S3_PiS2_.has_indirect_call, 0
	.section	.AMDGPU.csdata,"",@progbits
; Kernel info:
; codeLenInByte = 4504
; TotalNumSgprs: 80
; NumVgprs: 42
; ScratchSize: 0
; MemoryBound: 0
; FloatMode: 240
; IeeeMode: 1
; LDSByteSize: 0 bytes/workgroup (compile time only)
; SGPRBlocks: 0
; VGPRBlocks: 2
; NumSGPRsForWavesPerEU: 80
; NumVGPRsForWavesPerEU: 42
; NamedBarCnt: 0
; Occupancy: 16
; WaveLimiterHint : 1
; COMPUTE_PGM_RSRC2:SCRATCH_EN: 0
; COMPUTE_PGM_RSRC2:USER_SGPR: 2
; COMPUTE_PGM_RSRC2:TRAP_HANDLER: 0
; COMPUTE_PGM_RSRC2:TGID_X_EN: 1
; COMPUTE_PGM_RSRC2:TGID_Y_EN: 1
; COMPUTE_PGM_RSRC2:TGID_Z_EN: 1
; COMPUTE_PGM_RSRC2:TIDIG_COMP_CNT: 0
	.section	.text._ZN9rocsolver6v33100L25stedcx_mergeValues_kernelIdEEviiPT_lS3_lS3_S3_PiS2_S2_S2_,"axG",@progbits,_ZN9rocsolver6v33100L25stedcx_mergeValues_kernelIdEEviiPT_lS3_lS3_S3_PiS2_S2_S2_,comdat
	.globl	_ZN9rocsolver6v33100L25stedcx_mergeValues_kernelIdEEviiPT_lS3_lS3_S3_PiS2_S2_S2_ ; -- Begin function _ZN9rocsolver6v33100L25stedcx_mergeValues_kernelIdEEviiPT_lS3_lS3_S3_PiS2_S2_S2_
	.p2align	8
	.type	_ZN9rocsolver6v33100L25stedcx_mergeValues_kernelIdEEviiPT_lS3_lS3_S3_PiS2_S2_S2_,@function
_ZN9rocsolver6v33100L25stedcx_mergeValues_kernelIdEEviiPT_lS3_lS3_S3_PiS2_S2_S2_: ; @_ZN9rocsolver6v33100L25stedcx_mergeValues_kernelIdEEviiPT_lS3_lS3_S3_PiS2_S2_S2_
; %bb.0:
	s_clause 0x1
	s_load_b64 s[20:21], s[0:1], 0x0
	s_load_b512 s[4:19], s[0:1], 0x8
	s_bfe_u32 s3, ttmp6, 0x40010
	s_bfe_u32 s24, ttmp6, 0x40014
	s_and_b32 s2, ttmp7, 0xffff
	s_lshr_b32 s23, ttmp7, 16
	s_add_co_i32 s3, s3, 1
	s_add_co_i32 s24, s24, 1
	s_bfe_u32 s22, ttmp6, 0x40004
	s_bfe_u32 s26, ttmp6, 0x40008
	s_mul_i32 s3, s2, s3
	s_mul_i32 s24, s23, s24
	s_getreg_b32 s25, hwreg(HW_REG_IB_STS2, 6, 4)
	s_add_co_i32 s3, s22, s3
	s_add_co_i32 s26, s26, s24
	s_cmp_eq_u32 s25, 0
	s_cselect_b32 s22, s23, s26
	s_cselect_b32 s24, s2, s3
	s_wait_kmcnt 0x0
	s_mul_i32 s23, s21, 5
	s_ashr_i32 s27, s21, 31
	s_add_co_i32 s2, s23, 2
	s_mov_b32 s26, s21
	s_mul_i32 s2, s2, s22
	s_lshl_b64 s[50:51], s[26:27], 2
	s_ashr_i32 s3, s2, 31
	s_mov_b32 s23, 0
	s_lshl_b64 s[2:3], s[2:3], 2
	s_delay_alu instid0(SALU_CYCLE_1) | instskip(NEXT) | instid1(SALU_CYCLE_1)
	s_add_nc_u64 s[28:29], s[16:17], s[2:3]
	s_add_nc_u64 s[30:31], s[28:29], s[50:51]
	s_load_b32 s33, s[30:31], 0x4
	s_wait_kmcnt 0x0
	s_cmp_ge_i32 s24, s33
	s_cbranch_scc1 .LBB23_275
; %bb.1:
	s_bfe_u32 s34, ttmp6, 0x4000c
	s_and_b32 s35, ttmp6, 15
	s_add_co_i32 s34, s34, 1
	s_mul_u64 s[6:7], s[6:7], s[22:23]
	s_mul_i32 s34, ttmp9, s34
	s_mul_u64 s[10:11], s[10:11], s[22:23]
	s_add_co_i32 s35, s35, s34
	s_cmp_eq_u32 s25, 0
                                        ; implicit-def: $vgpr69 : SGPR spill to VGPR lane
	s_add_nc_u64 s[48:49], s[0:1], 0x58
	s_cselect_b32 s84, ttmp9, s35
	s_lshl_b64 s[6:7], s[6:7], 3
	s_lshl_b64 s[34:35], s[10:11], 3
	s_add_nc_u64 s[10:11], s[4:5], s[6:7]
	s_lshl_b32 s6, s22, 1
	s_mul_i32 s22, s21, s21
	s_mul_i32 s4, s6, s21
	s_lshl_b32 s85, 1, s20
	s_ashr_i32 s5, s4, 31
	s_lshl_b32 s86, 2, s20
	s_lshl_b64 s[4:5], s[4:5], 3
	s_lshl_b64 s[40:41], s[26:27], 3
	s_add_nc_u64 s[12:13], s[12:13], s[4:5]
	s_mul_i32 s4, s6, s22
	s_lshl_b64 s[6:7], s[22:23], 3
	s_ashr_i32 s5, s4, 31
	s_not_b32 s21, s20
	s_lshl_b64 s[4:5], s[4:5], 3
	s_cmp_gt_i32 s85, 1
	s_mul_i32 s44, s86, s84
	s_cselect_b32 s87, -1, 0
	s_ashr_i32 s45, s44, 31
	s_cmp_gt_i32 s86, 1
	s_add_nc_u64 s[8:9], s[8:9], s[34:35]
	s_cselect_b32 s88, -1, 0
	s_add_co_i32 s22, s85, -2
	s_add_nc_u64 s[34:35], s[30:31], s[50:51]
	v_writelane_b32 v69, s22, 0
	s_or_b32 s22, s44, 1
	s_cmp_eq_u32 s20, 1
	s_add_nc_u64 s[36:37], s[34:35], s[50:51]
	v_mul_lo_u32 v67, v0, s26
	v_writelane_b32 v69, s22, 1
	s_cselect_b32 s22, -1, 0
	s_cmp_lg_u32 s20, 1
	s_add_nc_u64 s[38:39], s[36:37], s[50:51]
	s_cselect_b32 s92, -1, 0
	v_writelane_b32 v69, s22, 2
	s_bfm_b32 s22, s20, 0
	v_dual_lshlrev_b32 v1, 1, v0 :: v_dual_mov_b32 v11, 0
	s_or_b32 s25, s22, 1
	s_and_b32 s93, s22, -2
	v_writelane_b32 v69, s25, 3
	s_cmp_lg_u32 s22, s93
	v_cvt_f32_u32_e32 v66, v0
	s_cselect_b32 s0, -1, 0
	s_cmp_lg_u32 s20, 0
	v_writelane_b32 v69, s0, 4
	s_add_nc_u64 s[0:1], s[50:51], s[2:3]
	s_cselect_b32 s96, -1, 0
	s_add_nc_u64 s[52:53], s[16:17], s[0:1]
	s_lshl_b64 s[50:51], s[44:45], 2
	s_add_nc_u64 s[52:53], s[52:53], 8
	s_add_nc_u64 s[0:1], s[0:1], s[50:51]
	v_writelane_b32 v69, s52, 5
	s_add_nc_u64 s[0:1], s[16:17], s[0:1]
	v_dual_add_nc_u32 v68, s26, v0 :: v_dual_lshlrev_b32 v12, 3, v0
	s_add_nc_u64 s[54:55], s[0:1], 8
	v_writelane_b32 v69, s53, 6
	s_mul_u64 s[52:53], s[26:27], 12
	v_mov_b32_e32 v13, v11
	s_add_nc_u64 s[0:1], s[52:53], s[2:3]
	s_lshl_b64 s[52:53], s[26:27], 4
	s_add_nc_u64 s[0:1], s[16:17], s[0:1]
	s_add_nc_u64 s[2:3], s[52:53], s[2:3]
	;; [unrolled: 1-line block ×9, first 2 shown]
	s_add_co_i32 s97, s86, -1
	s_add_co_i32 s45, s86, -2
	s_add_nc_u64 s[58:59], s[12:13], 8
	s_add_nc_u64 s[14:15], s[14:15], s[0:1]
	s_branch .LBB23_4
.LBB23_2:                               ;   in Loop: Header=BB23_4 Depth=1
	s_or_b32 exec_lo, exec_lo, s22
.LBB23_3:                               ;   in Loop: Header=BB23_4 Depth=1
	s_add_co_i32 s24, s24, 8
	s_delay_alu instid0(SALU_CYCLE_1)
	s_cmp_ge_i32 s24, s33
	s_cbranch_scc1 .LBB23_275
.LBB23_4:                               ; =>This Loop Header: Depth=1
                                        ;     Child Loop BB23_14 Depth 2
                                        ;     Child Loop BB23_19 Depth 2
	;; [unrolled: 1-line block ×7, first 2 shown]
                                        ;       Child Loop BB23_51 Depth 3
                                        ;     Child Loop BB23_56 Depth 2
                                        ;       Child Loop BB23_58 Depth 3
                                        ;     Child Loop BB23_62 Depth 2
                                        ;     Child Loop BB23_66 Depth 2
                                        ;       Child Loop BB23_71 Depth 3
                                        ;       Child Loop BB23_78 Depth 3
	;; [unrolled: 1-line block ×10, first 2 shown]
                                        ;         Child Loop BB23_188 Depth 4
                                        ;         Child Loop BB23_192 Depth 4
                                        ;       Child Loop BB23_198 Depth 3
                                        ;       Child Loop BB23_214 Depth 3
	;; [unrolled: 1-line block ×5, first 2 shown]
                                        ;         Child Loop BB23_258 Depth 4
                                        ;     Child Loop BB23_268 Depth 2
                                        ;       Child Loop BB23_272 Depth 3
	s_ashr_i32 s25, s24, 31
	s_delay_alu instid0(SALU_CYCLE_1)
	s_lshl_b64 s[0:1], s[24:25], 2
	s_barrier_signal -1
	s_add_nc_u64 s[0:1], s[28:29], s[0:1]
	s_barrier_wait -1
	global_load_b64 v[2:3], v11, s[0:1]
	s_mov_b32 s2, 0
	s_wait_loadcnt 0x0
	s_wait_xcnt 0x0
	v_readfirstlane_b32 s0, v2
	v_readfirstlane_b32 s1, v3
	s_sub_co_i32 s1, s1, s0
	s_delay_alu instid0(SALU_CYCLE_1)
	s_cmp_lt_i32 s1, 3
	s_cbranch_scc1 .LBB23_9
; %bb.5:                                ;   in Loop: Header=BB23_4 Depth=1
	s_cmp_lt_u32 s1, 5
	s_mov_b32 s2, 1
	s_cbranch_scc1 .LBB23_9
; %bb.6:                                ;   in Loop: Header=BB23_4 Depth=1
	s_cmp_lt_u32 s1, 33
	s_mov_b32 s2, 2
	;; [unrolled: 4-line block ×3, first 2 shown]
	s_cbranch_scc1 .LBB23_9
; %bb.8:                                ;   in Loop: Header=BB23_4 Depth=1
	s_cmp_lt_u32 s1, 0x128
	s_cselect_b32 s2, 5, 7
	s_cmp_lt_u32 s1, 0x79b
	s_cselect_b32 s2, s2, 8
.LBB23_9:                               ;   in Loop: Header=BB23_4 Depth=1
	s_delay_alu instid0(SALU_CYCLE_1) | instskip(NEXT) | instid1(SALU_CYCLE_1)
	s_add_co_i32 s1, s2, s21
	s_lshl_b32 s2, 1, s1
	s_cmp_gt_i32 s1, -1
	s_cselect_b32 s1, s2, 0
	s_delay_alu instid0(SALU_CYCLE_1)
	s_cmp_ge_i32 s84, s1
	s_cbranch_scc1 .LBB23_3
; %bb.10:                               ;   in Loop: Header=BB23_4 Depth=1
	s_load_b32 s22, s[48:49], 0xc
	s_wait_kmcnt 0x0
	s_bfe_u32 s25, s22, 0xf0001
	s_delay_alu instid0(SALU_CYCLE_1) | instskip(NEXT) | instid1(SALU_CYCLE_3)
	s_cvt_f32_u32 s1, s25
	v_rcp_iflag_f32_e32 v2, s1
	v_nop
	s_delay_alu instid0(TRANS32_DEP_1) | instskip(NEXT) | instid1(VALU_DEP_1)
	v_mul_f32_e32 v2, v66, v2
	v_trunc_f32_e32 v2, v2
	s_delay_alu instid0(VALU_DEP_1) | instskip(SKIP_1) | instid1(VALU_DEP_2)
	v_fma_f32 v3, -v2, s1, v66
	v_cvt_u32_f32_e32 v2, v2
	v_cmp_ge_f32_e64 vcc_lo, |v3|, s1
	s_ashr_i32 s1, s0, 31
	s_delay_alu instid0(SALU_CYCLE_1) | instskip(NEXT) | instid1(SALU_CYCLE_1)
	s_lshl_b64 s[2:3], s[0:1], 2
	s_add_nc_u64 s[0:1], s[34:35], s[2:3]
	v_add_co_ci_u32_e64 v2, null, 0, v2, vcc_lo
	s_add_nc_u64 s[4:5], s[30:31], s[2:3]
	s_and_not1_b32 vcc_lo, exec_lo, s87
	v_and_b32_e32 v2, 0x7fff, v2
	s_delay_alu instid0(VALU_DEP_1) | instskip(NEXT) | instid1(VALU_DEP_1)
	v_lshlrev_b32_e32 v3, s20, v2
	v_add_nc_u32_e32 v6, s44, v3
	s_clause 0x1
	global_load_b32 v2, v6, s[0:1] offset:8 scale_offset
	global_load_b32 v4, v6, s[4:5] offset:8 scale_offset
	s_cbranch_vccnz .LBB23_22
; %bb.11:                               ;   in Loop: Header=BB23_4 Depth=1
	v_dual_mov_b32 v8, 1 :: v_dual_ashrrev_i32 v7, 31, v6
	s_and_not1_b32 vcc_lo, exec_lo, s92
	s_cbranch_vccnz .LBB23_16
; %bb.12:                               ;   in Loop: Header=BB23_4 Depth=1
	v_readlane_b32 s6, v69, 1
	s_mov_b32 s7, -1
	s_mov_b32 s27, exec_lo
	v_dual_mov_b32 v8, 1 :: v_dual_add_nc_u32 v3, s6, v3
	v_readlane_b32 s6, v69, 0
	s_delay_alu instid0(VALU_DEP_1) | instskip(SKIP_1) | instid1(VALU_DEP_1)
	v_add_nc_u32_e32 v5, s6, v3
	s_wait_xcnt 0x0
	v_cmpx_ge_i32_e64 v5, v3
	s_cbranch_execz .LBB23_17
; %bb.13:                               ;   in Loop: Header=BB23_4 Depth=1
	v_lshl_add_u64 v[8:9], v[6:7], 2, s[4:5]
	v_mov_b32_e32 v3, 0
	s_mov_b32 s6, 0
.LBB23_14:                              ;   Parent Loop BB23_4 Depth=1
                                        ; =>  This Inner Loop Header: Depth=2
	s_delay_alu instid0(SALU_CYCLE_1) | instskip(SKIP_3) | instid1(SALU_CYCLE_1)
	s_ashr_i32 s7, s6, 31
	s_wait_xcnt 0x0
	v_lshl_add_u64 v[14:15], s[6:7], 2, v[8:9]
	s_add_co_i32 s6, s6, 2
	s_cmp_lg_u32 s93, s6
	global_load_b64 v[14:15], v[14:15], off offset:12
	s_wait_loadcnt 0x0
	v_dual_add_nc_u32 v3, v15, v3 :: v_dual_add_nc_u32 v4, v14, v4
	s_cbranch_scc1 .LBB23_14
; %bb.15:                               ;   in Loop: Header=BB23_4 Depth=1
	v_readlane_b32 s6, v69, 3
	s_delay_alu instid0(VALU_DEP_1)
	v_dual_add_nc_u32 v4, v4, v3 :: v_dual_mov_b32 v8, s6
	v_readlane_b32 s6, v69, 4
	s_or_not1_b32 s7, s6, exec_lo
	s_wait_xcnt 0x0
	s_or_b32 exec_lo, exec_lo, s27
	s_and_saveexec_b32 s6, s7
	s_cbranch_execnz .LBB23_18
	s_branch .LBB23_21
.LBB23_16:                              ;   in Loop: Header=BB23_4 Depth=1
	v_readlane_b32 s7, v69, 2
	s_wait_xcnt 0x0
	s_and_saveexec_b32 s6, s7
	s_cbranch_execnz .LBB23_18
	s_branch .LBB23_21
.LBB23_17:                              ;   in Loop: Header=BB23_4 Depth=1
	s_or_b32 exec_lo, exec_lo, s27
	s_and_saveexec_b32 s6, s7
	s_cbranch_execz .LBB23_21
.LBB23_18:                              ;   in Loop: Header=BB23_4 Depth=1
	v_lshl_add_u64 v[6:7], v[6:7], 2, s[2:3]
	v_dual_ashrrev_i32 v9, 31, v8 :: v_dual_sub_nc_u32 v3, s85, v8
	v_readlane_b32 s52, v69, 5
	v_readlane_b32 s53, v69, 6
	s_mov_b32 s7, 0
	v_lshl_add_u64 v[6:7], v[8:9], 2, v[6:7]
	s_delay_alu instid0(VALU_DEP_1)
	v_add_nc_u64_e32 v[6:7], s[52:53], v[6:7]
.LBB23_19:                              ;   Parent Loop BB23_4 Depth=1
                                        ; =>  This Inner Loop Header: Depth=2
	global_load_b32 v5, v[6:7], off
	v_add_nc_u32_e32 v3, -1, v3
	s_wait_xcnt 0x0
	v_add_nc_u64_e32 v[6:7], 4, v[6:7]
	s_wait_loadcnt 0x0
	v_add_nc_u32_e32 v4, v5, v4
	v_cmp_eq_u32_e32 vcc_lo, 0, v3
	s_or_b32 s7, vcc_lo, s7
	s_delay_alu instid0(SALU_CYCLE_1)
	s_and_not1_b32 exec_lo, exec_lo, s7
	s_cbranch_execnz .LBB23_19
; %bb.20:                               ;   in Loop: Header=BB23_4 Depth=1
	s_or_b32 exec_lo, exec_lo, s7
.LBB23_21:                              ;   in Loop: Header=BB23_4 Depth=1
	s_delay_alu instid0(SALU_CYCLE_1)
	s_or_b32 exec_lo, exec_lo, s6
.LBB23_22:                              ;   in Loop: Header=BB23_4 Depth=1
	s_wait_loadcnt 0x1
	v_ashrrev_i32_e32 v3, 31, v2
	s_mov_b32 s6, exec_lo
                                        ; implicit-def: $vgpr6_vgpr7
	s_wait_xcnt 0x0
	v_cmpx_le_u32_e64 s25, v0
	s_xor_b32 s6, exec_lo, s6
; %bb.23:                               ;   in Loop: Header=BB23_4 Depth=1
	v_lshl_add_u64 v[2:3], v[2:3], 3, s[8:9]
                                        ; implicit-def: $vgpr4
	s_delay_alu instid0(VALU_DEP_1)
	v_add_nc_u64_e32 v[6:7], -8, v[2:3]
                                        ; implicit-def: $vgpr2
; %bb.24:                               ;   in Loop: Header=BB23_4 Depth=1
	s_and_not1_saveexec_b32 s6, s6
	s_cbranch_execz .LBB23_26
; %bb.25:                               ;   in Loop: Header=BB23_4 Depth=1
	s_wait_loadcnt 0x0
	v_ashrrev_i32_e32 v5, 31, v4
	s_delay_alu instid0(VALU_DEP_1) | instskip(NEXT) | instid1(VALU_DEP_1)
	v_add_nc_u64_e32 v[2:3], v[2:3], v[4:5]
	v_lshl_add_u64 v[2:3], v[2:3], 3, s[8:9]
	s_delay_alu instid0(VALU_DEP_1)
	v_add_nc_u64_e32 v[6:7], -8, v[2:3]
.LBB23_26:                              ;   in Loop: Header=BB23_4 Depth=1
	s_or_b32 exec_lo, exec_lo, s6
	s_add_nc_u64 s[4:5], s[4:5], s[50:51]
	s_and_not1_b32 vcc_lo, exec_lo, s88
	global_load_b32 v2, v11, s[4:5] offset:8
	global_load_b64 v[6:7], v[6:7], off
	s_wait_loadcnt 0x1
	v_readfirstlane_b32 s25, v2
	s_cbranch_vccnz .LBB23_34
; %bb.27:                               ;   in Loop: Header=BB23_4 Depth=1
	s_and_b32 vcc_lo, exec_lo, s96
	s_cbranch_vccz .LBB23_31
; %bb.28:                               ;   in Loop: Header=BB23_4 Depth=1
	s_mov_b32 s6, 0
	s_mov_b32 s27, 0
.LBB23_29:                              ;   Parent Loop BB23_4 Depth=1
                                        ; =>  This Inner Loop Header: Depth=2
	s_ashr_i32 s7, s6, 31
	s_delay_alu instid0(SALU_CYCLE_1)
	s_lshl_b64 s[52:53], s[6:7], 2
	s_add_co_i32 s6, s6, 2
	s_add_nc_u64 s[52:53], s[4:5], s[52:53]
	global_load_b64 v[2:3], v11, s[52:53] offset:12
	s_wait_loadcnt 0x0
	v_readfirstlane_b32 s7, v3
	s_wait_xcnt 0x0
	v_readfirstlane_b32 s52, v2
	s_add_co_i32 s27, s7, s27
	s_add_co_i32 s25, s52, s25
	s_cmp_lg_u32 s45, s6
	s_cbranch_scc1 .LBB23_29
; %bb.30:                               ;   in Loop: Header=BB23_4 Depth=1
	s_add_co_i32 s25, s25, s27
	s_mov_b32 s4, s97
	s_branch .LBB23_32
.LBB23_31:                              ;   in Loop: Header=BB23_4 Depth=1
	s_wait_xcnt 0x1
	s_mov_b32 s4, 1
.LBB23_32:                              ;   in Loop: Header=BB23_4 Depth=1
	s_delay_alu instid0(SALU_CYCLE_1) | instskip(NEXT) | instid1(SALU_CYCLE_1)
	s_ashr_i32 s5, s4, 31
	s_lshl_b64 s[6:7], s[4:5], 2
	s_sub_co_i32 s4, s86, s4
	s_add_nc_u64 s[2:3], s[2:3], s[6:7]
	s_delay_alu instid0(SALU_CYCLE_1)
	s_add_nc_u64 s[2:3], s[54:55], s[2:3]
.LBB23_33:                              ;   Parent Loop BB23_4 Depth=1
                                        ; =>  This Inner Loop Header: Depth=2
	global_load_b32 v2, v11, s[2:3]
	s_add_co_i32 s4, s4, -1
	s_wait_xcnt 0x0
	s_add_nc_u64 s[2:3], s[2:3], 4
	s_wait_loadcnt 0x0
	v_readfirstlane_b32 s5, v2
	s_add_co_i32 s25, s5, s25
	s_cmp_eq_u32 s4, 0
	s_cbranch_scc0 .LBB23_33
.LBB23_34:                              ;   in Loop: Header=BB23_4 Depth=1
	s_add_nc_u64 s[0:1], s[0:1], s[50:51]
	s_and_b32 s27, s22, 0xffff
	global_load_b32 v2, v11, s[0:1] offset:8
	s_mov_b32 s60, 0
	s_wait_loadcnt 0x0
	v_readfirstlane_b32 s62, v2
	s_ashr_i32 s63, s62, 31
	s_cmp_gt_i32 s25, 0
	s_cselect_b32 s98, -1, 0
	s_cmp_lt_i32 s25, 1
	s_cbranch_scc1 .LBB23_45
; %bb.35:                               ;   in Loop: Header=BB23_4 Depth=1
	s_cmp_lg_u32 s25, 1
	s_cbranch_scc0 .LBB23_39
; %bb.36:                               ;   in Loop: Header=BB23_4 Depth=1
	s_wait_xcnt 0x0
	s_lshl_b64 s[0:1], s[62:63], 2
	s_and_b32 s22, s25, 0x7ffffffe
	s_add_nc_u64 s[2:3], s[56:57], s[0:1]
	s_mov_b32 s4, 0
	s_mov_b32 s5, s22
	;; [unrolled: 1-line block ×3, first 2 shown]
.LBB23_37:                              ;   Parent Loop BB23_4 Depth=1
                                        ; =>  This Inner Loop Header: Depth=2
	global_load_b64 v[2:3], v11, s[2:3]
	s_wait_xcnt 0x0
	s_add_nc_u64 s[2:3], s[2:3], 8
	s_wait_loadcnt 0x0
	v_readfirstlane_b32 s7, v2
	v_readfirstlane_b32 s52, v3
	s_cmp_eq_u32 s7, 1
	s_cselect_b32 s7, -1, 0
	s_cmp_eq_u32 s52, 1
	s_cselect_b32 s52, -1, 0
	s_delay_alu instid0(SALU_CYCLE_1) | instskip(SKIP_4) | instid1(SALU_CYCLE_1)
	s_cmp_lg_u32 s52, 0
	s_add_co_ci_u32 s6, s6, 0
	s_cmp_lg_u32 s7, 0
	s_add_co_ci_u32 s4, s4, 0
	s_add_co_i32 s5, s5, -2
	s_cmp_lg_u32 s5, 0
	s_cbranch_scc1 .LBB23_37
; %bb.38:                               ;   in Loop: Header=BB23_4 Depth=1
	s_add_co_i32 s60, s4, s6
	s_cmp_lg_u32 s25, s22
	s_cselect_b32 s3, -1, 0
	s_mov_b32 s2, s60
	s_branch .LBB23_41
.LBB23_39:                              ;   in Loop: Header=BB23_4 Depth=1
	s_mov_b32 s3, 0
                                        ; implicit-def: $sgpr60
                                        ; implicit-def: $sgpr0_sgpr1
	s_mov_b32 s2, s60
	s_cbranch_execz .LBB23_41
; %bb.40:                               ;   in Loop: Header=BB23_4 Depth=1
	s_wait_xcnt 0x0
	s_lshl_b64 s[0:1], s[62:63], 2
	s_mov_b32 s3, -1
	s_mov_b32 s2, 0
	s_mov_b32 s22, 0
.LBB23_41:                              ;   in Loop: Header=BB23_4 Depth=1
	s_and_not1_b32 vcc_lo, exec_lo, s3
	s_cbranch_vccnz .LBB23_45
; %bb.42:                               ;   in Loop: Header=BB23_4 Depth=1
	s_wait_xcnt 0x2
	s_lshl_b64 s[4:5], s[22:23], 2
	s_sub_co_i32 s3, s25, s22
	s_wait_xcnt 0x0
	s_add_nc_u64 s[0:1], s[0:1], s[4:5]
	s_delay_alu instid0(SALU_CYCLE_1)
	s_add_nc_u64 s[0:1], s[56:57], s[0:1]
.LBB23_43:                              ;   Parent Loop BB23_4 Depth=1
                                        ; =>  This Inner Loop Header: Depth=2
	global_load_b32 v2, v11, s[0:1]
	s_wait_xcnt 0x0
	s_add_nc_u64 s[0:1], s[0:1], 4
	s_wait_loadcnt 0x0
	v_readfirstlane_b32 s4, v2
	s_cmp_eq_u32 s4, 1
	s_cselect_b32 s4, -1, 0
	s_delay_alu instid0(SALU_CYCLE_1) | instskip(SKIP_2) | instid1(SALU_CYCLE_1)
	s_cmp_lg_u32 s4, 0
	s_add_co_ci_u32 s2, s2, 0
	s_add_co_i32 s3, s3, -1
	s_cmp_eq_u32 s3, 0
	s_cbranch_scc0 .LBB23_43
; %bb.44:                               ;   in Loop: Header=BB23_4 Depth=1
	s_mov_b32 s60, s2
.LBB23_45:                              ;   in Loop: Header=BB23_4 Depth=1
	s_wait_xcnt 0x0
	s_mul_i32 s0, s62, s26
	s_delay_alu instid0(SALU_CYCLE_1)
	s_ashr_i32 s1, s0, 31
	s_cmp_eq_u32 s60, 0
	s_cbranch_scc1 .LBB23_53
; %bb.46:                               ;   in Loop: Header=BB23_4 Depth=1
	s_lshl_b64 s[2:3], s[62:63], 2
	s_lshl_b64 s[4:5], s[62:63], 3
	;; [unrolled: 1-line block ×3, first 2 shown]
	s_add_co_i32 s52, s60, -1
	s_lshl_b32 s53, s27, 1
	s_add_nc_u64 s[2:3], s[16:17], s[2:3]
	s_lshl_b32 s22, s27, 3
	s_add_nc_u64 s[4:5], s[58:59], s[4:5]
	s_lshl_b32 s6, s27, 4
	s_mov_b32 s7, s23
	s_add_nc_u64 s[64:65], s[14:15], s[64:65]
	s_mov_b32 s61, 0
	s_mov_b32 s68, 0
	s_branch .LBB23_48
.LBB23_47:                              ;   in Loop: Header=BB23_48 Depth=2
	s_or_b32 exec_lo, exec_lo, s69
	s_add_co_i32 s61, s61, 1
	s_xor_b32 s68, s68, -1
	s_cmp_eq_u32 s61, s60
	s_wait_storecnt 0x0
	s_barrier_signal -1
	s_barrier_wait -1
	s_cbranch_scc1 .LBB23_53
.LBB23_48:                              ;   Parent Loop BB23_4 Depth=1
                                        ; =>  This Loop Header: Depth=2
                                        ;       Child Loop BB23_51 Depth 3
	v_and_or_b32 v20, s61, 1, v1
	s_mov_b32 s69, exec_lo
	s_delay_alu instid0(VALU_DEP_1)
	v_cmpx_gt_i32_e64 s52, v20
	s_cbranch_execz .LBB23_47
; %bb.49:                               ;   in Loop: Header=BB23_48 Depth=2
	v_cndmask_b32_e64 v2, 0, 1, s68
	s_mov_b64 s[66:67], 0
	s_mov_b32 s70, 0
	s_delay_alu instid0(VALU_DEP_1) | instskip(NEXT) | instid1(VALU_DEP_1)
	v_add_nc_u32_e32 v2, v1, v2
	v_lshlrev_b32_e32 v10, 2, v2
	s_delay_alu instid0(VALU_DEP_1) | instskip(SKIP_1) | instid1(VALU_DEP_1)
	v_add_nc_u64_e32 v[8:9], s[2:3], v[10:11]
	v_lshlrev_b32_e32 v10, 3, v2
	v_add_nc_u64_e32 v[14:15], s[4:5], v[10:11]
	v_add_nc_u64_e32 v[16:17], s[64:65], v[10:11]
	s_branch .LBB23_51
.LBB23_50:                              ;   in Loop: Header=BB23_51 Depth=3
	s_wait_xcnt 0x0
	s_or_b32 exec_lo, exec_lo, s71
	v_add_nc_u32_e32 v20, s53, v20
	v_add_nc_u64_e32 v[8:9], s[22:23], v[8:9]
	s_add_nc_u64 s[66:67], s[66:67], s[6:7]
	s_delay_alu instid0(VALU_DEP_2) | instskip(SKIP_1) | instid1(SALU_CYCLE_1)
	v_cmp_le_i32_e32 vcc_lo, s52, v20
	s_or_b32 s70, vcc_lo, s70
	s_and_not1_b32 exec_lo, exec_lo, s70
	s_cbranch_execz .LBB23_47
.LBB23_51:                              ;   Parent Loop BB23_4 Depth=1
                                        ;     Parent Loop BB23_48 Depth=2
                                        ; =>    This Inner Loop Header: Depth=3
	s_delay_alu instid0(VALU_DEP_1)
	v_add_nc_u64_e32 v[18:19], s[66:67], v[16:17]
	s_mov_b32 s71, exec_lo
	global_load_b128 v[2:5], v[18:19], off
	s_wait_loadcnt 0x0
	s_wait_xcnt 0x0
	v_cmpx_gt_f64_e32 v[2:3], v[4:5]
	s_cbranch_execz .LBB23_50
; %bb.52:                               ;   in Loop: Header=BB23_51 Depth=3
	v_add_nc_u64_e32 v[26:27], s[66:67], v[14:15]
	v_dual_mov_b32 v22, v4 :: v_dual_mov_b32 v23, v5
	v_dual_mov_b32 v24, v2 :: v_dual_mov_b32 v25, v3
	global_load_b64 v[28:29], v[8:9], off
	global_store_b128 v[18:19], v[22:25], off
	global_load_b128 v[2:5], v[26:27], off offset:-8
	s_wait_loadcnt 0x1
	s_wait_xcnt 0x1
	v_dual_mov_b32 v18, v29 :: v_dual_mov_b32 v19, v28
	s_wait_loadcnt 0x0
	v_dual_mov_b32 v25, v3 :: v_dual_mov_b32 v22, v4
	v_dual_mov_b32 v23, v5 :: v_dual_mov_b32 v24, v2
	global_store_b128 v[26:27], v[22:25], off offset:-8
	global_store_b64 v[8:9], v[18:19], off
	s_branch .LBB23_50
.LBB23_53:                              ;   in Loop: Header=BB23_4 Depth=1
	s_lshl_b64 s[2:3], s[0:1], 3
	v_cmp_gt_u32_e64 s0, s60, v0
	s_add_nc_u64 s[64:65], s[46:47], s[2:3]
	s_add_nc_u64 s[68:69], s[14:15], s[2:3]
	s_and_saveexec_b32 s1, s0
	s_cbranch_execz .LBB23_60
; %bb.54:                               ;   in Loop: Header=BB23_4 Depth=1
	s_mul_i32 s4, s25, s26
	v_dual_mov_b32 v2, v68 :: v_dual_mov_b32 v10, v0
	s_cmp_lt_i32 s26, s4
	s_mov_b32 s6, 0
	s_cselect_b32 s5, -1, 0
	s_branch .LBB23_56
.LBB23_55:                              ;   in Loop: Header=BB23_56 Depth=2
	v_add_nc_u32_e32 v10, s27, v10
	v_add_nc_u32_e32 v2, s27, v2
	s_delay_alu instid0(VALU_DEP_2) | instskip(SKIP_1) | instid1(SALU_CYCLE_1)
	v_cmp_le_u32_e32 vcc_lo, s60, v10
	s_or_b32 s6, vcc_lo, s6
	s_and_not1_b32 exec_lo, exec_lo, s6
	s_cbranch_execz .LBB23_60
.LBB23_56:                              ;   Parent Loop BB23_4 Depth=1
                                        ; =>  This Loop Header: Depth=2
                                        ;       Child Loop BB23_58 Depth 3
	s_and_not1_b32 vcc_lo, exec_lo, s5
	s_cbranch_vccnz .LBB23_55
; %bb.57:                               ;   in Loop: Header=BB23_56 Depth=2
	global_load_b64 v[4:5], v10, s[64:65] scale_offset
	v_ashrrev_i32_e32 v3, 31, v2
	s_mov_b32 s7, 0
	v_add_nc_u32_e32 v14, s26, v10
	s_delay_alu instid0(VALU_DEP_2)
	v_lshl_add_u64 v[8:9], v[2:3], 3, s[68:69]
	v_add_nc_u32_e32 v3, s4, v10
.LBB23_58:                              ;   Parent Loop BB23_4 Depth=1
                                        ;     Parent Loop BB23_56 Depth=2
                                        ; =>    This Inner Loop Header: Depth=3
	s_delay_alu instid0(VALU_DEP_3)
	v_add_nc_u32_e32 v14, s26, v14
	s_wait_loadcnt 0x0
	global_store_b64 v[8:9], v[4:5], off
	s_wait_xcnt 0x0
	v_add_nc_u64_e32 v[8:9], s[40:41], v[8:9]
	v_cmp_ge_i32_e32 vcc_lo, v14, v3
	s_or_b32 s7, vcc_lo, s7
	s_delay_alu instid0(SALU_CYCLE_1)
	s_and_not1_b32 exec_lo, exec_lo, s7
	s_cbranch_execnz .LBB23_58
; %bb.59:                               ;   in Loop: Header=BB23_56 Depth=2
	s_or_b32 exec_lo, exec_lo, s7
	s_branch .LBB23_55
.LBB23_60:                              ;   in Loop: Header=BB23_4 Depth=1
	s_or_b32 exec_lo, exec_lo, s1
	v_cmp_gt_i32_e32 vcc_lo, s25, v0
	s_and_saveexec_b32 s4, vcc_lo
	s_cbranch_execz .LBB23_63
; %bb.61:                               ;   in Loop: Header=BB23_4 Depth=1
	v_lshl_add_u64 v[2:3], s[62:63], 3, v[12:13]
	v_mov_b32_e32 v4, v0
	s_lshl_b32 s22, s27, 3
	s_mov_b32 s5, 0
.LBB23_62:                              ;   Parent Loop BB23_4 Depth=1
                                        ; =>  This Inner Loop Header: Depth=2
	s_delay_alu instid0(VALU_DEP_2) | instskip(NEXT) | instid1(VALU_DEP_2)
	v_add_nc_u64_e32 v[8:9], s[10:11], v[2:3]
	v_add_nc_u32_e32 v4, s27, v4
	v_add_nc_u64_e32 v[14:15], s[42:43], v[2:3]
	v_add_nc_u64_e32 v[2:3], s[22:23], v[2:3]
	s_delay_alu instid0(VALU_DEP_3)
	v_cmp_le_i32_e64 s1, s25, v4
	global_load_b64 v[8:9], v[8:9], off
	s_or_b32 s5, s1, s5
	s_wait_loadcnt 0x0
	global_store_b64 v[14:15], v[8:9], off
	s_wait_xcnt 0x0
	s_and_not1_b32 exec_lo, exec_lo, s5
	s_cbranch_execnz .LBB23_62
.LBB23_63:                              ;   in Loop: Header=BB23_4 Depth=1
	s_or_b32 exec_lo, exec_lo, s4
	s_lshl_b64 s[70:71], s[62:63], 3
	s_wait_storecnt 0x0
	s_add_nc_u64 s[66:67], s[12:13], s[70:71]
	s_barrier_signal -1
	s_barrier_wait -1
	s_and_saveexec_b32 s99, vcc_lo
	s_cbranch_execz .LBB23_264
; %bb.64:                               ;   in Loop: Header=BB23_4 Depth=1
	v_dual_add_f64 v[14:15], v[6:7], v[6:7] :: v_dual_mov_b32 v10, v0
	s_lshl_b64 s[4:5], s[62:63], 2
	s_cmp_lt_i32 s60, 1
	s_add_nc_u64 s[76:77], s[36:37], s[4:5]
	s_cselect_b32 s100, -1, 0
	s_add_co_i32 s72, s60, -1
	s_add_co_i32 s101, s60, -2
	s_cmp_gt_u32 s60, 2
	s_add_nc_u64 s[74:75], s[42:43], s[70:71]
	s_cselect_b32 s102, -1, 0
	s_ashr_i32 s61, s60, 31
	v_mov_b32_e32 v22, v67
	s_lshl_b64 s[6:7], s[60:61], 3
	s_cmp_gt_u32 s60, 1
	s_add_nc_u64 s[78:79], s[66:67], s[6:7]
	s_cselect_b32 s103, -1, 0
	s_ashr_i32 s73, s72, 31
	s_delay_alu instid0(SALU_CYCLE_1)
	s_lshl_b64 s[4:5], s[72:73], 3
	s_mov_b32 s73, 0
	s_add_nc_u64 s[2:3], s[2:3], s[4:5]
	s_add_nc_u64 s[4:5], s[70:71], s[4:5]
	s_add_nc_u64 s[80:81], s[14:15], s[2:3]
	s_add_nc_u64 s[82:83], s[12:13], s[4:5]
	s_delay_alu instid0(VALU_DEP_2) | instskip(SKIP_1) | instid1(VALU_DEP_1)
	v_cmp_gt_f64_e64 s1, 0, v[14:15]
	v_xor_b32_e32 v2, 0x80000000, v15
	v_cndmask_b32_e64 v15, v15, v2, s1
	s_delay_alu instid0(VALU_DEP_1) | instskip(SKIP_1) | instid1(VALU_DEP_2)
	v_div_scale_f64 v[2:3], null, v[14:15], v[14:15], 1.0
	v_div_scale_f64 v[8:9], vcc_lo, 1.0, v[14:15], 1.0
	v_rcp_f64_e32 v[4:5], v[2:3]
	v_nop
	s_delay_alu instid0(TRANS32_DEP_1) | instskip(NEXT) | instid1(VALU_DEP_1)
	v_fma_f64 v[6:7], -v[2:3], v[4:5], 1.0
	v_fmac_f64_e32 v[4:5], v[4:5], v[6:7]
	s_delay_alu instid0(VALU_DEP_1) | instskip(NEXT) | instid1(VALU_DEP_1)
	v_fma_f64 v[6:7], -v[2:3], v[4:5], 1.0
	v_fmac_f64_e32 v[4:5], v[4:5], v[6:7]
	s_delay_alu instid0(VALU_DEP_1) | instskip(SKIP_1) | instid1(VALU_DEP_2)
	v_mul_f64_e32 v[6:7], v[8:9], v[4:5]
	v_mul_f64_e32 v[20:21], 0.5, v[14:15]
	v_fma_f64 v[2:3], -v[2:3], v[6:7], v[8:9]
	s_delay_alu instid0(VALU_DEP_1) | instskip(NEXT) | instid1(VALU_DEP_1)
	v_div_fmas_f64 v[2:3], v[2:3], v[4:5], v[6:7]
	v_div_fixup_f64 v[16:17], v[2:3], v[14:15], 1.0
	s_delay_alu instid0(VALU_DEP_1)
	v_add_f64_e32 v[18:19], v[16:17], v[16:17]
	s_branch .LBB23_66
.LBB23_65:                              ;   in Loop: Header=BB23_66 Depth=2
	s_wait_xcnt 0x0
	s_or_b32 exec_lo, exec_lo, s104
	v_add_nc_u32_e32 v10, s27, v10
	s_mul_i32 s2, s26, s27
	s_delay_alu instid0(SALU_CYCLE_1) | instskip(NEXT) | instid1(VALU_DEP_2)
	v_add_nc_u32_e32 v22, s2, v22
	v_cmp_le_i32_e32 vcc_lo, s25, v10
	s_or_b32 s73, vcc_lo, s73
	s_delay_alu instid0(SALU_CYCLE_1)
	s_and_not1_b32 exec_lo, exec_lo, s73
	s_cbranch_execz .LBB23_264
.LBB23_66:                              ;   Parent Loop BB23_4 Depth=1
                                        ; =>  This Loop Header: Depth=2
                                        ;       Child Loop BB23_71 Depth 3
                                        ;       Child Loop BB23_78 Depth 3
                                        ;       Child Loop BB23_82 Depth 3
                                        ;       Child Loop BB23_97 Depth 3
                                        ;       Child Loop BB23_100 Depth 3
                                        ;       Child Loop BB23_103 Depth 3
                                        ;       Child Loop BB23_107 Depth 3
                                        ;       Child Loop BB23_138 Depth 3
                                        ;       Child Loop BB23_142 Depth 3
                                        ;       Child Loop BB23_147 Depth 3
                                        ;         Child Loop BB23_188 Depth 4
                                        ;         Child Loop BB23_192 Depth 4
                                        ;       Child Loop BB23_198 Depth 3
                                        ;       Child Loop BB23_214 Depth 3
	;; [unrolled: 1-line block ×5, first 2 shown]
                                        ;         Child Loop BB23_258 Depth 4
	global_load_b32 v2, v10, s[76:77] offset:8 scale_offset
	s_mov_b32 s104, exec_lo
	s_wait_loadcnt 0x0
	s_wait_xcnt 0x0
	v_cmpx_eq_u32_e32 1, v2
	s_cbranch_execz .LBB23_65
; %bb.67:                               ;   in Loop: Header=BB23_66 Depth=2
	v_mul_lo_u32 v4, v10, s26
	s_and_not1_b32 vcc_lo, exec_lo, s100
	s_mov_b32 s2, -1
                                        ; implicit-def: $vgpr2
	s_cbranch_vccnz .LBB23_69
; %bb.68:                               ;   in Loop: Header=BB23_66 Depth=2
	v_mul_lo_u32 v2, v10, s26
	s_mov_b32 s2, 0
.LBB23_69:                              ;   in Loop: Header=BB23_66 Depth=2
	v_lshl_add_u64 v[24:25], v[10:11], 3, s[74:75]
	v_mov_b32_e32 v6, 0
	s_and_not1_b32 vcc_lo, exec_lo, s2
	s_cbranch_vccnz .LBB23_73
; %bb.70:                               ;   in Loop: Header=BB23_66 Depth=2
	global_load_b64 v[2:3], v[24:25], off
	s_mov_b32 s3, 0
	s_wait_loadcnt 0x0
	v_xor_b32_e32 v5, 0x80000000, v3
	s_delay_alu instid0(VALU_DEP_1)
	v_dual_mov_b32 v6, 0 :: v_dual_cndmask_b32 v3, v3, v5, s1
	v_mov_b32_e32 v5, s60
.LBB23_71:                              ;   Parent Loop BB23_4 Depth=1
                                        ;     Parent Loop BB23_66 Depth=2
                                        ; =>    This Inner Loop Header: Depth=3
	s_delay_alu instid0(VALU_DEP_1) | instskip(NEXT) | instid1(VALU_DEP_1)
	v_lshrrev_b32_e32 v7, 1, v5
	v_add_nc_u32_e32 v23, v6, v7
	s_delay_alu instid0(VALU_DEP_1)
	v_add_nc_u32_e32 v8, v23, v4
	v_xad_u32 v5, v7, -1, v5
	global_load_b64 v[8:9], v8, s[64:65] scale_offset
	s_wait_loadcnt 0x0
	v_cmp_lt_f64_e32 vcc_lo, v[8:9], v[2:3]
	v_dual_cndmask_b32 v5, v7, v5, vcc_lo :: v_dual_add_nc_u32 v7, 1, v23
	s_delay_alu instid0(VALU_DEP_1) | instskip(NEXT) | instid1(VALU_DEP_2)
	v_cmp_gt_i32_e64 s2, 1, v5
	v_cndmask_b32_e32 v6, v6, v7, vcc_lo
	s_or_b32 s3, s2, s3
	s_wait_xcnt 0x0
	s_and_not1_b32 exec_lo, exec_lo, s3
	s_cbranch_execnz .LBB23_71
; %bb.72:                               ;   in Loop: Header=BB23_66 Depth=2
	s_or_b32 exec_lo, exec_lo, s3
	v_mov_b32_e32 v2, v4
.LBB23_73:                              ;   in Loop: Header=BB23_66 Depth=2
	v_ashrrev_i32_e32 v23, 31, v22
	s_delay_alu instid0(VALU_DEP_2) | instskip(SKIP_1) | instid1(VALU_DEP_2)
	v_ashrrev_i32_e32 v3, 31, v2
                                        ; implicit-def: $vgpr8_vgpr9
	s_mov_b32 s2, exec_lo
	v_lshlrev_b64_e32 v[44:45], 3, v[22:23]
	s_delay_alu instid0(VALU_DEP_2) | instskip(NEXT) | instid1(VALU_DEP_2)
	v_lshl_add_u64 v[46:47], v[2:3], 3, s[64:65]
	v_add_nc_u64_e32 v[26:27], s[68:69], v[44:45]
	v_cmpx_ne_u32_e64 s72, v6
	s_xor_b32 vcc_hi, exec_lo, s2
	s_cbranch_execnz .LBB23_76
; %bb.74:                               ;   in Loop: Header=BB23_66 Depth=2
	s_and_not1_saveexec_b32 s5, vcc_hi
	s_cbranch_execnz .LBB23_196
.LBB23_75:                              ;   in Loop: Header=BB23_66 Depth=2
	s_or_b32 exec_lo, exec_lo, s5
	global_store_b64 v[24:25], v[8:9], off
	s_wait_xcnt 0x0
	s_and_b32 exec_lo, exec_lo, s1
	s_cbranch_execz .LBB23_65
	s_branch .LBB23_263
.LBB23_76:                              ;   in Loop: Header=BB23_66 Depth=2
	v_mov_b32_e32 v7, v11
	s_mov_b32 s4, exec_lo
	s_delay_alu instid0(VALU_DEP_1) | instskip(SKIP_3) | instid1(VALU_DEP_1)
	v_lshl_add_u64 v[28:29], v[6:7], 3, v[46:47]
	global_load_b128 v[2:5], v[28:29], off
	s_wait_loadcnt 0x0
	v_add_f64_e32 v[8:9], v[2:3], v[4:5]
	v_mul_f64_e32 v[30:31], 0.5, v[8:9]
	v_mov_b64_e32 v[8:9], 0
	s_wait_xcnt 0x0
	v_cmpx_ne_u32_e32 0, v6
	s_cbranch_execz .LBB23_80
; %bb.77:                               ;   in Loop: Header=BB23_66 Depth=2
	v_mov_b64_e32 v[8:9], 0
	v_mov_b64_e32 v[32:33], v[26:27]
	v_mov_b32_e32 v23, v6
	s_mov_b32 s5, 0
	s_mov_b64 s[2:3], s[66:67]
.LBB23_78:                              ;   Parent Loop BB23_4 Depth=1
                                        ;     Parent Loop BB23_66 Depth=2
                                        ; =>    This Inner Loop Header: Depth=3
	global_load_b64 v[34:35], v[32:33], off
	global_load_b64 v[36:37], v11, s[2:3]
	s_wait_xcnt 0x1
	v_add_nc_u64_e32 v[32:33], 8, v[32:33]
	s_wait_xcnt 0x0
	s_add_nc_u64 s[2:3], s[2:3], 8
	v_add_nc_u32_e32 v23, -1, v23
	s_wait_loadcnt 0x1
	v_add_f64_e64 v[34:35], v[34:35], -v[30:31]
	s_wait_loadcnt 0x0
	s_delay_alu instid0(VALU_DEP_1) | instskip(SKIP_1) | instid1(VALU_DEP_2)
	v_div_scale_f64 v[38:39], null, v[34:35], v[34:35], v[36:37]
	v_div_scale_f64 v[48:49], vcc_lo, v[36:37], v[34:35], v[36:37]
	v_rcp_f64_e32 v[40:41], v[38:39]
	v_nop
	s_delay_alu instid0(TRANS32_DEP_1) | instskip(NEXT) | instid1(VALU_DEP_1)
	v_fma_f64 v[42:43], -v[38:39], v[40:41], 1.0
	v_fmac_f64_e32 v[40:41], v[40:41], v[42:43]
	s_delay_alu instid0(VALU_DEP_1) | instskip(NEXT) | instid1(VALU_DEP_1)
	v_fma_f64 v[42:43], -v[38:39], v[40:41], 1.0
	v_fmac_f64_e32 v[40:41], v[40:41], v[42:43]
	s_delay_alu instid0(VALU_DEP_1) | instskip(NEXT) | instid1(VALU_DEP_1)
	v_mul_f64_e32 v[42:43], v[48:49], v[40:41]
	v_fma_f64 v[38:39], -v[38:39], v[42:43], v[48:49]
	s_delay_alu instid0(VALU_DEP_1) | instskip(SKIP_2) | instid1(VALU_DEP_2)
	v_div_fmas_f64 v[38:39], v[38:39], v[40:41], v[42:43]
	v_cmp_eq_u32_e32 vcc_lo, 0, v23
	s_or_b32 s5, vcc_lo, s5
	v_div_fixup_f64 v[34:35], v[38:39], v[34:35], v[36:37]
	s_delay_alu instid0(VALU_DEP_1)
	v_fmac_f64_e32 v[8:9], v[36:37], v[34:35]
	s_and_not1_b32 exec_lo, exec_lo, s5
	s_cbranch_execnz .LBB23_78
; %bb.79:                               ;   in Loop: Header=BB23_66 Depth=2
	s_or_b32 exec_lo, exec_lo, s5
.LBB23_80:                              ;   in Loop: Header=BB23_66 Depth=2
	s_delay_alu instid0(SALU_CYCLE_1) | instskip(SKIP_4) | instid1(VALU_DEP_1)
	s_or_b32 exec_lo, exec_lo, s4
	v_mov_b64_e32 v[34:35], v[4:5]
	v_mov_b64_e32 v[38:39], 0
	v_add_nc_u32_e32 v36, 1, v6
	s_mov_b32 s2, exec_lo
	v_cmpx_gt_i32_e64 s72, v36
	s_cbranch_execz .LBB23_84
; %bb.81:                               ;   in Loop: Header=BB23_66 Depth=2
	v_mov_b64_e32 v[38:39], 0
	s_mov_b32 s3, 0
	s_mov_b32 s22, s72
.LBB23_82:                              ;   Parent Loop BB23_4 Depth=1
                                        ;     Parent Loop BB23_66 Depth=2
                                        ; =>    This Inner Loop Header: Depth=3
	s_delay_alu instid0(SALU_CYCLE_1)
	v_lshl_add_u64 v[32:33], s[22:23], 3, v[46:47]
	global_load_b64 v[32:33], v[32:33], off
	v_mov_b32_e32 v23, s22
	s_add_co_i32 s22, s22, -1
	s_wait_loadcnt 0x0
	s_wait_xcnt 0x0
	v_add_f64_e64 v[32:33], v[32:33], -v[30:31]
	global_load_b64 v[40:41], v23, s[66:67] scale_offset
	s_wait_loadcnt 0x0
	v_div_scale_f64 v[42:43], null, v[32:33], v[32:33], v[40:41]
	v_div_scale_f64 v[52:53], vcc_lo, v[40:41], v[32:33], v[40:41]
	s_delay_alu instid0(VALU_DEP_2) | instskip(SKIP_1) | instid1(TRANS32_DEP_1)
	v_rcp_f64_e32 v[48:49], v[42:43]
	v_nop
	v_fma_f64 v[50:51], -v[42:43], v[48:49], 1.0
	s_delay_alu instid0(VALU_DEP_1) | instskip(NEXT) | instid1(VALU_DEP_1)
	v_fmac_f64_e32 v[48:49], v[48:49], v[50:51]
	v_fma_f64 v[50:51], -v[42:43], v[48:49], 1.0
	s_delay_alu instid0(VALU_DEP_1) | instskip(NEXT) | instid1(VALU_DEP_1)
	v_fmac_f64_e32 v[48:49], v[48:49], v[50:51]
	v_mul_f64_e32 v[50:51], v[52:53], v[48:49]
	s_delay_alu instid0(VALU_DEP_1) | instskip(NEXT) | instid1(VALU_DEP_1)
	v_fma_f64 v[42:43], -v[42:43], v[50:51], v[52:53]
	v_div_fmas_f64 v[42:43], v[42:43], v[48:49], v[50:51]
	v_cmp_le_u32_e32 vcc_lo, s22, v36
	s_or_b32 s3, vcc_lo, s3
	s_delay_alu instid0(VALU_DEP_2) | instskip(NEXT) | instid1(VALU_DEP_1)
	v_div_fixup_f64 v[32:33], v[42:43], v[32:33], v[40:41]
	v_fmac_f64_e32 v[38:39], v[40:41], v[32:33]
	s_wait_xcnt 0x0
	s_and_not1_b32 exec_lo, exec_lo, s3
	s_cbranch_execnz .LBB23_82
; %bb.83:                               ;   in Loop: Header=BB23_66 Depth=2
	s_or_b32 exec_lo, exec_lo, s3
.LBB23_84:                              ;   in Loop: Header=BB23_66 Depth=2
	s_delay_alu instid0(SALU_CYCLE_1)
	s_or_b32 exec_lo, exec_lo, s2
	v_lshl_add_u64 v[30:31], v[6:7], 3, s[66:67]
	v_add_f64_e64 v[32:33], v[4:5], -v[2:3]
	v_add_f64_e32 v[8:9], v[16:17], v[8:9]
	global_load_b128 v[40:43], v[30:31], off
	v_add_f64_e32 v[38:39], v[8:9], v[38:39]
	s_wait_loadcnt 0x0
	v_mul_f64_e32 v[40:41], v[40:41], v[40:41]
	s_delay_alu instid0(VALU_DEP_1) | instskip(SKIP_1) | instid1(VALU_DEP_2)
	v_fma_f64 v[48:49], v[42:43], v[42:43], -v[40:41]
	v_mul_f64_e32 v[42:43], v[42:43], v[42:43]
	v_add_f64_e32 v[48:49], v[48:49], v[48:49]
	s_delay_alu instid0(VALU_DEP_1) | instskip(SKIP_1) | instid1(VALU_DEP_2)
	v_div_scale_f64 v[50:51], null, v[32:33], v[32:33], v[48:49]
	v_div_scale_f64 v[56:57], vcc_lo, v[48:49], v[32:33], v[48:49]
	v_rcp_f64_e32 v[52:53], v[50:51]
	v_nop
	s_delay_alu instid0(TRANS32_DEP_1) | instskip(NEXT) | instid1(VALU_DEP_1)
	v_fma_f64 v[54:55], -v[50:51], v[52:53], 1.0
	v_fmac_f64_e32 v[52:53], v[52:53], v[54:55]
	s_delay_alu instid0(VALU_DEP_1) | instskip(NEXT) | instid1(VALU_DEP_1)
	v_fma_f64 v[54:55], -v[50:51], v[52:53], 1.0
	v_fmac_f64_e32 v[52:53], v[52:53], v[54:55]
	s_delay_alu instid0(VALU_DEP_1) | instskip(NEXT) | instid1(VALU_DEP_1)
	v_mul_f64_e32 v[54:55], v[56:57], v[52:53]
	v_fma_f64 v[50:51], -v[50:51], v[54:55], v[56:57]
	s_delay_alu instid0(VALU_DEP_1) | instskip(SKIP_1) | instid1(VALU_DEP_2)
	v_div_fmas_f64 v[50:51], v[50:51], v[52:53], v[54:55]
	v_mul_f64_e32 v[54:55], v[32:33], v[38:39]
	v_div_fixup_f64 v[8:9], v[50:51], v[32:33], v[48:49]
                                        ; implicit-def: $vgpr48_vgpr49
                                        ; implicit-def: $vgpr50_vgpr51
	s_delay_alu instid0(VALU_DEP_1) | instskip(NEXT) | instid1(VALU_DEP_1)
	v_add_f64_e32 v[8:9], v[38:39], v[8:9]
	v_cmp_lt_f64_e64 s5, 0, v[8:9]
	v_cmp_nlt_f64_e64 s2, 0, v[8:9]
                                        ; implicit-def: $vgpr8_vgpr9
	s_wait_xcnt 0x0
	s_and_saveexec_b32 s3, s2
	s_delay_alu instid0(SALU_CYCLE_1)
	s_xor_b32 s4, exec_lo, s3
	s_cbranch_execz .LBB23_90
; %bb.85:                               ;   in Loop: Header=BB23_66 Depth=2
	v_mul_f64_e32 v[6:7], v[32:33], v[42:43]
	v_add_f64_e64 v[8:9], v[54:55], -v[40:41]
	s_delay_alu instid0(VALU_DEP_2) | instskip(NEXT) | instid1(VALU_DEP_2)
	v_mul_f64_e32 v[40:41], 4.0, v[6:7]
	v_add_f64_e64 v[8:9], v[8:9], -v[42:43]
	s_delay_alu instid0(VALU_DEP_2) | instskip(NEXT) | instid1(VALU_DEP_1)
	v_mul_f64_e32 v[40:41], v[38:39], v[40:41]
	v_fmac_f64_e32 v[40:41], v[8:9], v[8:9]
	s_delay_alu instid0(VALU_DEP_1) | instskip(NEXT) | instid1(VALU_DEP_1)
	v_cmp_gt_f64_e64 s3, 0x10000000, |v[40:41]|
	v_cndmask_b32_e64 v23, 0, 0x100, s3
	s_delay_alu instid0(VALU_DEP_1) | instskip(SKIP_1) | instid1(VALU_DEP_2)
	v_ldexp_f64 v[40:41], |v[40:41]|, v23
	v_cndmask_b32_e64 v23, 0, 0xffffff80, s3
	v_rsq_f64_e32 v[42:43], v[40:41]
	v_cmp_class_f64_e64 vcc_lo, v[40:41], 0x260
	s_delay_alu instid0(TRANS32_DEP_1) | instskip(SKIP_1) | instid1(VALU_DEP_1)
	v_mul_f64_e32 v[48:49], v[40:41], v[42:43]
	v_mul_f64_e32 v[42:43], 0.5, v[42:43]
	v_fma_f64 v[50:51], -v[42:43], v[48:49], 0.5
	s_delay_alu instid0(VALU_DEP_1) | instskip(SKIP_1) | instid1(VALU_DEP_2)
	v_fmac_f64_e32 v[48:49], v[48:49], v[50:51]
	v_fmac_f64_e32 v[42:43], v[42:43], v[50:51]
	v_fma_f64 v[50:51], -v[48:49], v[48:49], v[40:41]
	s_delay_alu instid0(VALU_DEP_1) | instskip(NEXT) | instid1(VALU_DEP_1)
	v_fmac_f64_e32 v[48:49], v[50:51], v[42:43]
	v_fma_f64 v[50:51], -v[48:49], v[48:49], v[40:41]
	s_delay_alu instid0(VALU_DEP_1) | instskip(NEXT) | instid1(VALU_DEP_1)
	v_fmac_f64_e32 v[48:49], v[50:51], v[42:43]
	v_ldexp_f64 v[42:43], v[48:49], v23
                                        ; implicit-def: $vgpr48_vgpr49
	s_delay_alu instid0(VALU_DEP_1) | instskip(SKIP_1) | instid1(VALU_DEP_3)
	v_cndmask_b32_e32 v40, v42, v40, vcc_lo
	v_cmp_ngt_f64_e64 s3, 0, v[8:9]
	v_cndmask_b32_e32 v41, v43, v41, vcc_lo
	s_and_saveexec_b32 s6, s3
	s_delay_alu instid0(SALU_CYCLE_1)
	s_xor_b32 s3, exec_lo, s6
	s_cbranch_execz .LBB23_87
; %bb.86:                               ;   in Loop: Header=BB23_66 Depth=2
	s_delay_alu instid0(VALU_DEP_1) | instskip(SKIP_1) | instid1(VALU_DEP_1)
	v_add_f64_e32 v[6:7], v[8:9], v[40:41]
	v_add_f64_e32 v[8:9], v[38:39], v[38:39]
	v_div_scale_f64 v[38:39], null, v[8:9], v[8:9], -v[6:7]
	s_delay_alu instid0(VALU_DEP_1) | instskip(SKIP_1) | instid1(TRANS32_DEP_1)
	v_rcp_f64_e32 v[40:41], v[38:39]
	v_nop
	v_fma_f64 v[42:43], -v[38:39], v[40:41], 1.0
	s_delay_alu instid0(VALU_DEP_1) | instskip(NEXT) | instid1(VALU_DEP_1)
	v_fmac_f64_e32 v[40:41], v[40:41], v[42:43]
	v_fma_f64 v[42:43], -v[38:39], v[40:41], 1.0
	s_delay_alu instid0(VALU_DEP_1) | instskip(SKIP_1) | instid1(VALU_DEP_1)
	v_fmac_f64_e32 v[40:41], v[40:41], v[42:43]
	v_div_scale_f64 v[42:43], vcc_lo, -v[6:7], v[8:9], -v[6:7]
	v_mul_f64_e32 v[48:49], v[42:43], v[40:41]
	s_delay_alu instid0(VALU_DEP_1) | instskip(NEXT) | instid1(VALU_DEP_1)
	v_fma_f64 v[38:39], -v[38:39], v[48:49], v[42:43]
	v_div_fmas_f64 v[38:39], v[38:39], v[40:41], v[48:49]
                                        ; implicit-def: $vgpr40_vgpr41
	s_delay_alu instid0(VALU_DEP_1)
	v_div_fixup_f64 v[48:49], v[38:39], v[8:9], -v[6:7]
                                        ; implicit-def: $vgpr6_vgpr7
                                        ; implicit-def: $vgpr8_vgpr9
.LBB23_87:                              ;   in Loop: Header=BB23_66 Depth=2
	s_and_not1_saveexec_b32 s3, s3
	s_cbranch_execz .LBB23_89
; %bb.88:                               ;   in Loop: Header=BB23_66 Depth=2
	v_add_f64_e32 v[6:7], v[6:7], v[6:7]
	v_add_f64_e64 v[8:9], v[8:9], -v[40:41]
	s_delay_alu instid0(VALU_DEP_1) | instskip(NEXT) | instid1(VALU_DEP_1)
	v_div_scale_f64 v[38:39], null, v[8:9], v[8:9], v[6:7]
	v_rcp_f64_e32 v[40:41], v[38:39]
	v_nop
	s_delay_alu instid0(TRANS32_DEP_1) | instskip(NEXT) | instid1(VALU_DEP_1)
	v_fma_f64 v[42:43], -v[38:39], v[40:41], 1.0
	v_fmac_f64_e32 v[40:41], v[40:41], v[42:43]
	s_delay_alu instid0(VALU_DEP_1) | instskip(NEXT) | instid1(VALU_DEP_1)
	v_fma_f64 v[42:43], -v[38:39], v[40:41], 1.0
	v_fmac_f64_e32 v[40:41], v[40:41], v[42:43]
	v_div_scale_f64 v[42:43], vcc_lo, v[6:7], v[8:9], v[6:7]
	s_delay_alu instid0(VALU_DEP_1) | instskip(NEXT) | instid1(VALU_DEP_1)
	v_mul_f64_e32 v[48:49], v[42:43], v[40:41]
	v_fma_f64 v[38:39], -v[38:39], v[48:49], v[42:43]
	s_delay_alu instid0(VALU_DEP_1) | instskip(NEXT) | instid1(VALU_DEP_1)
	v_div_fmas_f64 v[38:39], v[38:39], v[40:41], v[48:49]
	v_div_fixup_f64 v[48:49], v[38:39], v[8:9], v[6:7]
.LBB23_89:                              ;   in Loop: Header=BB23_66 Depth=2
	s_or_b32 exec_lo, exec_lo, s3
	v_mul_f64_e32 v[50:51], -0.5, v[32:33]
	s_delay_alu instid0(VALU_DEP_2)
	v_add_f64_e32 v[8:9], v[4:5], v[48:49]
                                        ; implicit-def: $vgpr54_vgpr55
                                        ; implicit-def: $vgpr40_vgpr41
                                        ; implicit-def: $vgpr42_vgpr43
                                        ; implicit-def: $vgpr38_vgpr39
                                        ; implicit-def: $vgpr6
.LBB23_90:                              ;   in Loop: Header=BB23_66 Depth=2
	s_or_saveexec_b32 s4, s4
	v_mov_b64_e32 v[52:53], 0
	s_xor_b32 exec_lo, exec_lo, s4
	s_cbranch_execz .LBB23_96
; %bb.91:                               ;   in Loop: Header=BB23_66 Depth=2
	v_mul_f64_e32 v[8:9], v[32:33], v[40:41]
	v_add_f64_e32 v[34:35], v[54:55], v[40:41]
	s_delay_alu instid0(VALU_DEP_2) | instskip(NEXT) | instid1(VALU_DEP_2)
	v_mul_f64_e32 v[36:37], -4.0, v[8:9]
	v_add_f64_e32 v[34:35], v[34:35], v[42:43]
	s_delay_alu instid0(VALU_DEP_2) | instskip(NEXT) | instid1(VALU_DEP_1)
	v_mul_f64_e32 v[36:37], v[38:39], v[36:37]
	v_fmac_f64_e32 v[36:37], v[34:35], v[34:35]
	s_delay_alu instid0(VALU_DEP_1) | instskip(NEXT) | instid1(VALU_DEP_1)
	v_cmp_gt_f64_e64 s3, 0x10000000, |v[36:37]|
	v_cndmask_b32_e64 v7, 0, 0x100, s3
	s_delay_alu instid0(VALU_DEP_1) | instskip(SKIP_1) | instid1(VALU_DEP_2)
	v_ldexp_f64 v[36:37], |v[36:37]|, v7
	v_cndmask_b32_e64 v7, 0, 0xffffff80, s3
	v_rsq_f64_e32 v[40:41], v[36:37]
	v_cmp_class_f64_e64 vcc_lo, v[36:37], 0x260
	s_delay_alu instid0(TRANS32_DEP_1) | instskip(SKIP_1) | instid1(VALU_DEP_1)
	v_mul_f64_e32 v[42:43], v[36:37], v[40:41]
	v_mul_f64_e32 v[40:41], 0.5, v[40:41]
	v_fma_f64 v[48:49], -v[40:41], v[42:43], 0.5
	s_delay_alu instid0(VALU_DEP_1) | instskip(SKIP_1) | instid1(VALU_DEP_2)
	v_fmac_f64_e32 v[42:43], v[42:43], v[48:49]
	v_fmac_f64_e32 v[40:41], v[40:41], v[48:49]
	v_fma_f64 v[48:49], -v[42:43], v[42:43], v[36:37]
	s_delay_alu instid0(VALU_DEP_1) | instskip(NEXT) | instid1(VALU_DEP_1)
	v_fmac_f64_e32 v[42:43], v[48:49], v[40:41]
	v_fma_f64 v[48:49], -v[42:43], v[42:43], v[36:37]
	s_delay_alu instid0(VALU_DEP_1) | instskip(NEXT) | instid1(VALU_DEP_1)
	v_fmac_f64_e32 v[42:43], v[48:49], v[40:41]
                                        ; implicit-def: $vgpr48_vgpr49
	v_ldexp_f64 v[40:41], v[42:43], v7
	s_delay_alu instid0(VALU_DEP_1) | instskip(SKIP_1) | instid1(VALU_DEP_3)
	v_cndmask_b32_e32 v37, v41, v37, vcc_lo
	v_cmp_nlt_f64_e64 s3, 0, v[34:35]
	v_cndmask_b32_e32 v36, v40, v36, vcc_lo
	s_and_saveexec_b32 s6, s3
	s_delay_alu instid0(SALU_CYCLE_1)
	s_xor_b32 s3, exec_lo, s6
	s_cbranch_execz .LBB23_93
; %bb.92:                               ;   in Loop: Header=BB23_66 Depth=2
	s_delay_alu instid0(VALU_DEP_1) | instskip(SKIP_1) | instid1(VALU_DEP_1)
	v_add_f64_e64 v[8:9], v[34:35], -v[36:37]
	v_add_f64_e32 v[34:35], v[38:39], v[38:39]
	v_div_scale_f64 v[36:37], null, v[34:35], v[34:35], v[8:9]
	s_delay_alu instid0(VALU_DEP_1) | instskip(SKIP_1) | instid1(TRANS32_DEP_1)
	v_rcp_f64_e32 v[38:39], v[36:37]
	v_nop
	v_fma_f64 v[40:41], -v[36:37], v[38:39], 1.0
	s_delay_alu instid0(VALU_DEP_1) | instskip(NEXT) | instid1(VALU_DEP_1)
	v_fmac_f64_e32 v[38:39], v[38:39], v[40:41]
	v_fma_f64 v[40:41], -v[36:37], v[38:39], 1.0
	s_delay_alu instid0(VALU_DEP_1) | instskip(SKIP_1) | instid1(VALU_DEP_1)
	v_fmac_f64_e32 v[38:39], v[38:39], v[40:41]
	v_div_scale_f64 v[40:41], vcc_lo, v[8:9], v[34:35], v[8:9]
	v_mul_f64_e32 v[42:43], v[40:41], v[38:39]
	s_delay_alu instid0(VALU_DEP_1) | instskip(NEXT) | instid1(VALU_DEP_1)
	v_fma_f64 v[36:37], -v[36:37], v[42:43], v[40:41]
	v_div_fmas_f64 v[36:37], v[36:37], v[38:39], v[42:43]
	s_delay_alu instid0(VALU_DEP_1)
	v_div_fixup_f64 v[48:49], v[36:37], v[34:35], v[8:9]
                                        ; implicit-def: $vgpr8_vgpr9
                                        ; implicit-def: $vgpr34_vgpr35
                                        ; implicit-def: $vgpr36_vgpr37
.LBB23_93:                              ;   in Loop: Header=BB23_66 Depth=2
	s_and_not1_saveexec_b32 s3, s3
	s_cbranch_execz .LBB23_95
; %bb.94:                               ;   in Loop: Header=BB23_66 Depth=2
	v_add_f64_e32 v[8:9], v[8:9], v[8:9]
	v_add_f64_e32 v[34:35], v[34:35], v[36:37]
	s_delay_alu instid0(VALU_DEP_1) | instskip(NEXT) | instid1(VALU_DEP_1)
	v_div_scale_f64 v[36:37], null, v[34:35], v[34:35], v[8:9]
	v_rcp_f64_e32 v[38:39], v[36:37]
	v_nop
	s_delay_alu instid0(TRANS32_DEP_1) | instskip(NEXT) | instid1(VALU_DEP_1)
	v_fma_f64 v[40:41], -v[36:37], v[38:39], 1.0
	v_fmac_f64_e32 v[38:39], v[38:39], v[40:41]
	s_delay_alu instid0(VALU_DEP_1) | instskip(NEXT) | instid1(VALU_DEP_1)
	v_fma_f64 v[40:41], -v[36:37], v[38:39], 1.0
	v_fmac_f64_e32 v[38:39], v[38:39], v[40:41]
	v_div_scale_f64 v[40:41], vcc_lo, v[8:9], v[34:35], v[8:9]
	s_delay_alu instid0(VALU_DEP_1) | instskip(NEXT) | instid1(VALU_DEP_1)
	v_mul_f64_e32 v[42:43], v[40:41], v[38:39]
	v_fma_f64 v[36:37], -v[36:37], v[42:43], v[40:41]
	s_delay_alu instid0(VALU_DEP_1) | instskip(NEXT) | instid1(VALU_DEP_1)
	v_div_fmas_f64 v[36:37], v[36:37], v[38:39], v[42:43]
	v_div_fixup_f64 v[48:49], v[36:37], v[34:35], v[8:9]
.LBB23_95:                              ;   in Loop: Header=BB23_66 Depth=2
	s_or_b32 exec_lo, exec_lo, s3
	v_dual_mul_f64 v[52:53], 0.5, v[32:33] :: v_dual_mov_b32 v36, v6
	s_delay_alu instid0(VALU_DEP_2)
	v_add_f64_e32 v[8:9], v[2:3], v[48:49]
	v_mov_b64_e32 v[50:51], 0
	v_mov_b64_e32 v[34:35], v[2:3]
.LBB23_96:                              ;   in Loop: Header=BB23_66 Depth=2
	s_or_b32 exec_lo, exec_lo, s4
	v_mov_b64_e32 v[6:7], v[26:27]
	s_mov_b32 s4, -1
	s_mov_b32 s3, 0
.LBB23_97:                              ;   Parent Loop BB23_4 Depth=1
                                        ;     Parent Loop BB23_66 Depth=2
                                        ; =>    This Inner Loop Header: Depth=3
	global_load_b64 v[38:39], v[6:7], off
	s_add_co_i32 s4, s4, 1
	s_delay_alu instid0(SALU_CYCLE_1)
	v_cmp_eq_u32_e32 vcc_lo, s4, v36
	s_or_b32 s3, vcc_lo, s3
	s_wait_loadcnt 0x0
	v_add_f64_e64 v[38:39], v[38:39], -v[34:35]
	global_store_b64 v[6:7], v[38:39], off
	s_wait_xcnt 0x0
	v_add_nc_u64_e32 v[6:7], 8, v[6:7]
	s_and_not1_b32 exec_lo, exec_lo, s3
	s_cbranch_execnz .LBB23_97
; %bb.98:                               ;   in Loop: Header=BB23_66 Depth=2
	s_or_b32 exec_lo, exec_lo, s3
	v_cmp_gt_i32_e64 s3, s72, v36
	s_and_saveexec_b32 s4, s3
	s_cbranch_execz .LBB23_101
; %bb.99:                               ;   in Loop: Header=BB23_66 Depth=2
	s_mov_b32 s6, 0
	s_mov_b32 s22, s72
.LBB23_100:                             ;   Parent Loop BB23_4 Depth=1
                                        ;     Parent Loop BB23_66 Depth=2
                                        ; =>    This Inner Loop Header: Depth=3
	s_delay_alu instid0(SALU_CYCLE_1) | instskip(SKIP_1) | instid1(SALU_CYCLE_1)
	v_lshl_add_u64 v[6:7], s[22:23], 3, v[46:47]
	s_add_co_i32 s22, s22, -1
	v_cmp_le_u32_e32 vcc_lo, s22, v36
	global_load_b64 v[38:39], v[6:7], off
	s_or_b32 s6, vcc_lo, s6
	s_wait_loadcnt 0x0
	v_add_f64_e64 v[38:39], v[38:39], -v[34:35]
	global_store_b64 v[6:7], v[38:39], off
	s_wait_xcnt 0x0
	s_and_not1_b32 exec_lo, exec_lo, s6
	s_cbranch_execnz .LBB23_100
.LBB23_101:                             ;   in Loop: Header=BB23_66 Depth=2
	s_or_b32 exec_lo, exec_lo, s4
	v_mov_b32_e32 v37, v11
	v_mov_b64_e32 v[42:43], 0
	v_mov_b64_e32 v[58:59], 0
	v_cmp_ne_u32_e64 s4, 0, v36
	s_delay_alu instid0(VALU_DEP_4)
	v_lshl_add_u64 v[38:39], v[36:37], 3, v[46:47]
	global_load_b64 v[6:7], v[38:39], off
	s_wait_loadcnt 0x0
	v_add_f64_e64 v[40:41], v[6:7], -v[48:49]
	v_mov_b64_e32 v[6:7], 0
	global_store_b64 v[38:39], v[40:41], off
	s_wait_xcnt 0x0
	s_and_saveexec_b32 s22, s4
	s_cbranch_execz .LBB23_105
; %bb.102:                              ;   in Loop: Header=BB23_66 Depth=2
	v_mov_b64_e32 v[6:7], 0
	v_mov_b64_e32 v[42:43], 0
	;; [unrolled: 1-line block ×4, first 2 shown]
	v_mov_b32_e32 v23, v36
	s_mov_b32 s52, 0
	s_mov_b64 s[6:7], s[66:67]
.LBB23_103:                             ;   Parent Loop BB23_4 Depth=1
                                        ;     Parent Loop BB23_66 Depth=2
                                        ; =>    This Inner Loop Header: Depth=3
	global_load_b64 v[54:55], v[40:41], off
	s_wait_loadcnt 0x0
	v_dual_add_f64 v[54:55], v[54:55], -v[48:49] :: v_dual_add_nc_u32 v23, -1, v23
	global_store_b64 v[40:41], v[54:55], off
	global_load_b64 v[56:57], v11, s[6:7]
	s_wait_xcnt 0x1
	v_add_nc_u64_e32 v[40:41], 8, v[40:41]
	s_wait_xcnt 0x0
	s_add_nc_u64 s[6:7], s[6:7], 8
	s_wait_loadcnt 0x0
	v_div_scale_f64 v[60:61], null, v[54:55], v[54:55], v[56:57]
	v_div_scale_f64 v[70:71], vcc_lo, v[56:57], v[54:55], v[56:57]
	s_delay_alu instid0(VALU_DEP_2) | instskip(SKIP_1) | instid1(TRANS32_DEP_1)
	v_rcp_f64_e32 v[62:63], v[60:61]
	v_nop
	v_fma_f64 v[64:65], -v[60:61], v[62:63], 1.0
	s_delay_alu instid0(VALU_DEP_1) | instskip(NEXT) | instid1(VALU_DEP_1)
	v_fmac_f64_e32 v[62:63], v[62:63], v[64:65]
	v_fma_f64 v[64:65], -v[60:61], v[62:63], 1.0
	s_delay_alu instid0(VALU_DEP_1) | instskip(NEXT) | instid1(VALU_DEP_1)
	v_fmac_f64_e32 v[62:63], v[62:63], v[64:65]
	v_mul_f64_e32 v[64:65], v[70:71], v[62:63]
	s_delay_alu instid0(VALU_DEP_1) | instskip(NEXT) | instid1(VALU_DEP_1)
	v_fma_f64 v[60:61], -v[60:61], v[64:65], v[70:71]
	v_div_fmas_f64 v[60:61], v[60:61], v[62:63], v[64:65]
	v_cmp_eq_u32_e32 vcc_lo, 0, v23
	s_or_b32 s52, vcc_lo, s52
	s_delay_alu instid0(VALU_DEP_2) | instskip(NEXT) | instid1(VALU_DEP_1)
	v_div_fixup_f64 v[54:55], v[60:61], v[54:55], v[56:57]
	v_fmac_f64_e32 v[58:59], v[56:57], v[54:55]
	v_fmac_f64_e32 v[6:7], v[54:55], v[54:55]
	s_delay_alu instid0(VALU_DEP_2)
	v_add_f64_e32 v[42:43], v[42:43], v[58:59]
	s_and_not1_b32 exec_lo, exec_lo, s52
	s_cbranch_execnz .LBB23_103
; %bb.104:                              ;   in Loop: Header=BB23_66 Depth=2
	s_or_b32 exec_lo, exec_lo, s52
	s_delay_alu instid0(VALU_DEP_1)
	v_and_b32_e32 v43, 0x7fffffff, v43
.LBB23_105:                             ;   in Loop: Header=BB23_66 Depth=2
	s_or_b32 exec_lo, exec_lo, s22
	v_mov_b64_e32 v[56:57], 0
	v_mov_b64_e32 v[62:63], 0
	s_and_saveexec_b32 s6, s3
	s_cbranch_execz .LBB23_109
; %bb.106:                              ;   in Loop: Header=BB23_66 Depth=2
	v_mov_b64_e32 v[56:57], 0
	v_mov_b64_e32 v[62:63], 0
	s_mov_b32 s7, 0
	s_mov_b32 s22, s72
.LBB23_107:                             ;   Parent Loop BB23_4 Depth=1
                                        ;     Parent Loop BB23_66 Depth=2
                                        ; =>    This Inner Loop Header: Depth=3
	s_delay_alu instid0(SALU_CYCLE_1)
	v_lshl_add_u64 v[40:41], s[22:23], 3, v[46:47]
	v_mov_b32_e32 v23, s22
	s_add_co_i32 s22, s22, -1
	global_load_b64 v[54:55], v[40:41], off
	s_wait_loadcnt 0x0
	v_add_f64_e64 v[54:55], v[54:55], -v[48:49]
	global_store_b64 v[40:41], v[54:55], off
	global_load_b64 v[40:41], v23, s[66:67] scale_offset
	s_wait_loadcnt 0x0
	v_div_scale_f64 v[60:61], null, v[54:55], v[54:55], v[40:41]
	v_div_scale_f64 v[72:73], vcc_lo, v[40:41], v[54:55], v[40:41]
	s_delay_alu instid0(VALU_DEP_2) | instskip(SKIP_1) | instid1(TRANS32_DEP_1)
	v_rcp_f64_e32 v[64:65], v[60:61]
	v_nop
	v_fma_f64 v[70:71], -v[60:61], v[64:65], 1.0
	s_delay_alu instid0(VALU_DEP_1) | instskip(NEXT) | instid1(VALU_DEP_1)
	v_fmac_f64_e32 v[64:65], v[64:65], v[70:71]
	v_fma_f64 v[70:71], -v[60:61], v[64:65], 1.0
	s_delay_alu instid0(VALU_DEP_1) | instskip(NEXT) | instid1(VALU_DEP_1)
	v_fmac_f64_e32 v[64:65], v[64:65], v[70:71]
	v_mul_f64_e32 v[70:71], v[72:73], v[64:65]
	s_delay_alu instid0(VALU_DEP_1) | instskip(NEXT) | instid1(VALU_DEP_1)
	v_fma_f64 v[60:61], -v[60:61], v[70:71], v[72:73]
	v_div_fmas_f64 v[60:61], v[60:61], v[64:65], v[70:71]
	v_cmp_le_u32_e32 vcc_lo, s22, v36
	s_or_b32 s7, vcc_lo, s7
	s_delay_alu instid0(VALU_DEP_2) | instskip(NEXT) | instid1(VALU_DEP_1)
	v_div_fixup_f64 v[54:55], v[60:61], v[54:55], v[40:41]
	v_fmac_f64_e32 v[62:63], v[40:41], v[54:55]
	v_fmac_f64_e32 v[56:57], v[54:55], v[54:55]
	s_delay_alu instid0(VALU_DEP_2)
	v_add_f64_e32 v[42:43], v[42:43], v[62:63]
	s_wait_xcnt 0x0
	s_and_not1_b32 exec_lo, exec_lo, s7
	s_cbranch_execnz .LBB23_107
; %bb.108:                              ;   in Loop: Header=BB23_66 Depth=2
	s_or_b32 exec_lo, exec_lo, s7
.LBB23_109:                             ;   in Loop: Header=BB23_66 Depth=2
	s_delay_alu instid0(SALU_CYCLE_1)
	s_or_b32 exec_lo, exec_lo, s6
	v_lshl_add_u64 v[40:41], v[36:37], 3, s[66:67]
	s_mov_b32 s94, exec_lo
	global_load_b64 v[54:55], v[38:39], off
	global_load_b64 v[64:65], v[40:41], off
	s_wait_loadcnt 0x0
	v_div_scale_f64 v[60:61], null, v[54:55], v[54:55], v[64:65]
	s_delay_alu instid0(VALU_DEP_1) | instskip(SKIP_1) | instid1(TRANS32_DEP_1)
	v_rcp_f64_e32 v[70:71], v[60:61]
	v_nop
	v_fma_f64 v[72:73], -v[60:61], v[70:71], 1.0
	s_delay_alu instid0(VALU_DEP_1) | instskip(NEXT) | instid1(VALU_DEP_1)
	v_fmac_f64_e32 v[70:71], v[70:71], v[72:73]
	v_fma_f64 v[72:73], -v[60:61], v[70:71], 1.0
	s_delay_alu instid0(VALU_DEP_1) | instskip(SKIP_1) | instid1(VALU_DEP_1)
	v_fmac_f64_e32 v[70:71], v[70:71], v[72:73]
	v_div_scale_f64 v[72:73], vcc_lo, v[64:65], v[54:55], v[64:65]
	v_mul_f64_e32 v[74:75], v[72:73], v[70:71]
	s_delay_alu instid0(VALU_DEP_1) | instskip(SKIP_2) | instid1(VALU_DEP_3)
	v_fma_f64 v[60:61], -v[60:61], v[74:75], v[72:73]
	v_add_f64_e64 v[72:73], v[62:63], -v[58:59]
	v_add_f64_e32 v[58:59], v[16:17], v[58:59]
	v_div_fmas_f64 v[60:61], v[60:61], v[70:71], v[74:75]
	s_delay_alu instid0(VALU_DEP_3) | instskip(NEXT) | instid1(VALU_DEP_3)
	v_fmamk_f64 v[72:73], v[72:73], 0x40200000, v[18:19]
	v_add_f64_e32 v[58:59], v[58:59], v[62:63]
	s_delay_alu instid0(VALU_DEP_3) | instskip(SKIP_1) | instid1(VALU_DEP_2)
	v_div_fixup_f64 v[70:71], v[60:61], v[54:55], v[64:65]
	v_add_f64_e32 v[60:61], v[6:7], v[56:57]
	v_mul_f64_e32 v[6:7], v[64:65], v[70:71]
	s_delay_alu instid0(VALU_DEP_2) | instskip(SKIP_1) | instid1(VALU_DEP_3)
	v_fma_f64 v[56:57], v[70:71], v[70:71], v[60:61]
	v_fmac_f64_e32 v[58:59], v[64:65], v[70:71]
	v_fma_f64 v[6:7], 0x40080000, |v[6:7]|, v[72:73]
	s_delay_alu instid0(VALU_DEP_1) | instskip(NEXT) | instid1(VALU_DEP_1)
	v_fma_f64 v[6:7], |v[48:49]|, v[56:57], v[6:7]
	v_add_f64_e32 v[6:7], v[42:43], v[6:7]
	s_delay_alu instid0(VALU_DEP_1) | instskip(SKIP_1) | instid1(VALU_DEP_1)
	v_mul_f64_e32 v[6:7], s[18:19], v[6:7]
	s_wait_xcnt 0x0
	v_cmpx_nle_f64_e64 |v[58:59]|, v[6:7]
	s_cbranch_execz .LBB23_195
; %bb.110:                              ;   in Loop: Header=BB23_66 Depth=2
	global_load_b128 v[6:9], v[28:29], off
                                        ; implicit-def: $vgpr64_vgpr65
	s_wait_xcnt 0x0
	s_and_saveexec_b32 s6, s2
	s_delay_alu instid0(SALU_CYCLE_1)
	s_xor_b32 s6, exec_lo, s6
	s_cbranch_execz .LBB23_112
; %bb.111:                              ;   in Loop: Header=BB23_66 Depth=2
	global_load_b64 v[42:43], v[30:31], off offset:8
	s_wait_loadcnt 0x0
	v_mul_f64_e32 v[62:63], v[32:33], v[42:43]
	s_delay_alu instid0(VALU_DEP_1) | instskip(NEXT) | instid1(VALU_DEP_1)
	v_mul_f64_e32 v[42:43], v[42:43], v[62:63]
	v_div_scale_f64 v[62:63], null, v[8:9], v[8:9], v[42:43]
	v_div_scale_f64 v[72:73], vcc_lo, v[42:43], v[8:9], v[42:43]
	s_delay_alu instid0(VALU_DEP_2) | instskip(SKIP_1) | instid1(TRANS32_DEP_1)
	v_rcp_f64_e32 v[64:65], v[62:63]
	v_nop
	v_fma_f64 v[70:71], -v[62:63], v[64:65], 1.0
	s_delay_alu instid0(VALU_DEP_1) | instskip(NEXT) | instid1(VALU_DEP_1)
	v_fmac_f64_e32 v[64:65], v[64:65], v[70:71]
	v_fma_f64 v[70:71], -v[62:63], v[64:65], 1.0
	s_delay_alu instid0(VALU_DEP_1) | instskip(NEXT) | instid1(VALU_DEP_1)
	v_fmac_f64_e32 v[64:65], v[64:65], v[70:71]
	v_mul_f64_e32 v[70:71], v[72:73], v[64:65]
	s_delay_alu instid0(VALU_DEP_1) | instskip(NEXT) | instid1(VALU_DEP_1)
	v_fma_f64 v[62:63], -v[62:63], v[70:71], v[72:73]
	v_div_fmas_f64 v[62:63], v[62:63], v[64:65], v[70:71]
	s_delay_alu instid0(VALU_DEP_1) | instskip(NEXT) | instid1(VALU_DEP_1)
	v_div_fixup_f64 v[42:43], v[62:63], v[8:9], v[42:43]
	v_div_scale_f64 v[62:63], null, v[8:9], v[8:9], v[42:43]
	s_delay_alu instid0(VALU_DEP_1) | instskip(SKIP_1) | instid1(TRANS32_DEP_1)
	v_rcp_f64_e32 v[64:65], v[62:63]
	v_nop
	v_fma_f64 v[70:71], -v[62:63], v[64:65], 1.0
	s_delay_alu instid0(VALU_DEP_1) | instskip(NEXT) | instid1(VALU_DEP_1)
	v_fmac_f64_e32 v[64:65], v[64:65], v[70:71]
	v_fma_f64 v[70:71], -v[62:63], v[64:65], 1.0
	s_delay_alu instid0(VALU_DEP_1) | instskip(SKIP_1) | instid1(VALU_DEP_1)
	v_fmac_f64_e32 v[64:65], v[64:65], v[70:71]
	v_div_scale_f64 v[70:71], vcc_lo, v[42:43], v[8:9], v[42:43]
	v_mul_f64_e32 v[72:73], v[70:71], v[64:65]
	s_delay_alu instid0(VALU_DEP_1) | instskip(NEXT) | instid1(VALU_DEP_1)
	v_fma_f64 v[62:63], -v[62:63], v[72:73], v[70:71]
	v_div_fmas_f64 v[62:63], v[62:63], v[64:65], v[72:73]
	v_fma_f64 v[64:65], -v[56:57], v[6:7], v[58:59]
	s_delay_alu instid0(VALU_DEP_2) | instskip(NEXT) | instid1(VALU_DEP_1)
	v_div_fixup_f64 v[42:43], v[62:63], v[8:9], v[42:43]
	v_add_f64_e64 v[64:65], v[64:65], -v[42:43]
.LBB23_112:                             ;   in Loop: Header=BB23_66 Depth=2
	s_wait_xcnt 0x0
	s_or_saveexec_b32 s6, s6
	v_add_f64_e64 v[42:43], v[2:3], -v[4:5]
	s_xor_b32 exec_lo, exec_lo, s6
	s_cbranch_execz .LBB23_114
; %bb.113:                              ;   in Loop: Header=BB23_66 Depth=2
	global_load_b64 v[2:3], v[30:31], off
	s_wait_loadcnt 0x0
	v_mul_f64_e32 v[4:5], v[42:43], v[2:3]
	s_delay_alu instid0(VALU_DEP_1) | instskip(NEXT) | instid1(VALU_DEP_1)
	v_mul_f64_e32 v[2:3], v[2:3], v[4:5]
	v_div_scale_f64 v[4:5], null, v[6:7], v[6:7], v[2:3]
	v_div_scale_f64 v[70:71], vcc_lo, v[2:3], v[6:7], v[2:3]
	s_delay_alu instid0(VALU_DEP_2) | instskip(SKIP_1) | instid1(TRANS32_DEP_1)
	v_rcp_f64_e32 v[62:63], v[4:5]
	v_nop
	v_fma_f64 v[64:65], -v[4:5], v[62:63], 1.0
	s_delay_alu instid0(VALU_DEP_1) | instskip(NEXT) | instid1(VALU_DEP_1)
	v_fmac_f64_e32 v[62:63], v[62:63], v[64:65]
	v_fma_f64 v[64:65], -v[4:5], v[62:63], 1.0
	s_delay_alu instid0(VALU_DEP_1) | instskip(NEXT) | instid1(VALU_DEP_1)
	v_fmac_f64_e32 v[62:63], v[62:63], v[64:65]
	v_mul_f64_e32 v[64:65], v[70:71], v[62:63]
	s_delay_alu instid0(VALU_DEP_1) | instskip(NEXT) | instid1(VALU_DEP_1)
	v_fma_f64 v[4:5], -v[4:5], v[64:65], v[70:71]
	v_div_fmas_f64 v[4:5], v[4:5], v[62:63], v[64:65]
	s_delay_alu instid0(VALU_DEP_1) | instskip(NEXT) | instid1(VALU_DEP_1)
	v_div_fixup_f64 v[2:3], v[4:5], v[6:7], v[2:3]
	v_div_scale_f64 v[4:5], null, v[6:7], v[6:7], v[2:3]
	s_delay_alu instid0(VALU_DEP_1) | instskip(SKIP_1) | instid1(TRANS32_DEP_1)
	v_rcp_f64_e32 v[62:63], v[4:5]
	v_nop
	v_fma_f64 v[64:65], -v[4:5], v[62:63], 1.0
	s_delay_alu instid0(VALU_DEP_1) | instskip(NEXT) | instid1(VALU_DEP_1)
	v_fmac_f64_e32 v[62:63], v[62:63], v[64:65]
	v_fma_f64 v[64:65], -v[4:5], v[62:63], 1.0
	s_delay_alu instid0(VALU_DEP_1) | instskip(SKIP_1) | instid1(VALU_DEP_1)
	v_fmac_f64_e32 v[62:63], v[62:63], v[64:65]
	v_div_scale_f64 v[64:65], vcc_lo, v[2:3], v[6:7], v[2:3]
	v_mul_f64_e32 v[70:71], v[64:65], v[62:63]
	s_delay_alu instid0(VALU_DEP_1) | instskip(NEXT) | instid1(VALU_DEP_1)
	v_fma_f64 v[4:5], -v[4:5], v[70:71], v[64:65]
	v_div_fmas_f64 v[4:5], v[4:5], v[62:63], v[70:71]
	v_fma_f64 v[62:63], -v[56:57], v[8:9], v[58:59]
	s_delay_alu instid0(VALU_DEP_2) | instskip(NEXT) | instid1(VALU_DEP_1)
	v_div_fixup_f64 v[2:3], v[4:5], v[6:7], v[2:3]
	v_add_f64_e64 v[64:65], v[62:63], -v[2:3]
.LBB23_114:                             ;   in Loop: Header=BB23_66 Depth=2
	s_wait_xcnt 0x0
	s_or_b32 exec_lo, exec_lo, s6
	s_wait_loadcnt 0x0
	v_mul_f64_e32 v[2:3], v[6:7], v[8:9]
	v_add_f64_e32 v[62:63], v[6:7], v[8:9]
	s_mov_b32 s6, exec_lo
	s_delay_alu instid0(VALU_DEP_2) | instskip(SKIP_1) | instid1(VALU_DEP_2)
	v_mul_f64_e32 v[70:71], v[56:57], v[2:3]
	v_mul_f64_e32 v[4:5], v[58:59], v[2:3]
                                        ; implicit-def: $vgpr2_vgpr3
	v_fma_f64 v[62:63], v[58:59], v[62:63], -v[70:71]
	v_cmpx_neq_f64_e32 0, v[64:65]
	s_xor_b32 s7, exec_lo, s6
	s_cbranch_execz .LBB23_120
; %bb.115:                              ;   in Loop: Header=BB23_66 Depth=2
	s_delay_alu instid0(VALU_DEP_3) | instskip(NEXT) | instid1(VALU_DEP_1)
	v_mul_f64_e32 v[2:3], -4.0, v[4:5]
	v_mul_f64_e32 v[2:3], v[2:3], v[64:65]
	s_delay_alu instid0(VALU_DEP_1) | instskip(NEXT) | instid1(VALU_DEP_1)
	v_fmac_f64_e32 v[2:3], v[62:63], v[62:63]
	v_cmp_gt_f64_e64 s6, 0x10000000, |v[2:3]|
	s_delay_alu instid0(VALU_DEP_1) | instskip(NEXT) | instid1(VALU_DEP_1)
	v_cndmask_b32_e64 v6, 0, 0x100, s6
	v_ldexp_f64 v[2:3], |v[2:3]|, v6
	s_delay_alu instid0(VALU_DEP_1) | instskip(SKIP_1) | instid1(TRANS32_DEP_1)
	v_rsq_f64_e32 v[6:7], v[2:3]
	v_cmp_class_f64_e64 vcc_lo, v[2:3], 0x260
	v_mul_f64_e32 v[8:9], v[2:3], v[6:7]
	v_mul_f64_e32 v[6:7], 0.5, v[6:7]
	s_delay_alu instid0(VALU_DEP_1) | instskip(NEXT) | instid1(VALU_DEP_1)
	v_fma_f64 v[60:61], -v[6:7], v[8:9], 0.5
	v_fmac_f64_e32 v[8:9], v[8:9], v[60:61]
	v_fmac_f64_e32 v[6:7], v[6:7], v[60:61]
	s_delay_alu instid0(VALU_DEP_2) | instskip(NEXT) | instid1(VALU_DEP_1)
	v_fma_f64 v[60:61], -v[8:9], v[8:9], v[2:3]
	v_fmac_f64_e32 v[8:9], v[60:61], v[6:7]
	s_delay_alu instid0(VALU_DEP_1) | instskip(NEXT) | instid1(VALU_DEP_1)
	v_fma_f64 v[60:61], -v[8:9], v[8:9], v[2:3]
	v_fmac_f64_e32 v[8:9], v[60:61], v[6:7]
	v_cndmask_b32_e64 v6, 0, 0xffffff80, s6
	v_cmp_ge_f64_e64 s6, 0, v[62:63]
	s_delay_alu instid0(VALU_DEP_2) | instskip(NEXT) | instid1(VALU_DEP_1)
	v_ldexp_f64 v[6:7], v[8:9], v6
	v_dual_cndmask_b32 v7, v7, v3 :: v_dual_cndmask_b32 v6, v6, v2
                                        ; implicit-def: $vgpr2_vgpr3
	s_and_saveexec_b32 s22, s6
	s_delay_alu instid0(SALU_CYCLE_1)
	s_xor_b32 s6, exec_lo, s22
	s_cbranch_execz .LBB23_117
; %bb.116:                              ;   in Loop: Header=BB23_66 Depth=2
	s_delay_alu instid0(VALU_DEP_1) | instskip(SKIP_1) | instid1(VALU_DEP_1)
	v_add_f64_e64 v[2:3], v[62:63], -v[6:7]
	v_add_f64_e32 v[4:5], v[64:65], v[64:65]
	v_div_scale_f64 v[6:7], null, v[4:5], v[4:5], v[2:3]
	s_delay_alu instid0(VALU_DEP_1) | instskip(SKIP_1) | instid1(TRANS32_DEP_1)
	v_rcp_f64_e32 v[8:9], v[6:7]
	v_nop
	v_fma_f64 v[60:61], -v[6:7], v[8:9], 1.0
	s_delay_alu instid0(VALU_DEP_1) | instskip(NEXT) | instid1(VALU_DEP_1)
	v_fmac_f64_e32 v[8:9], v[8:9], v[60:61]
	v_fma_f64 v[60:61], -v[6:7], v[8:9], 1.0
	s_delay_alu instid0(VALU_DEP_1) | instskip(SKIP_1) | instid1(VALU_DEP_1)
	v_fmac_f64_e32 v[8:9], v[8:9], v[60:61]
	v_div_scale_f64 v[60:61], vcc_lo, v[2:3], v[4:5], v[2:3]
	v_mul_f64_e32 v[62:63], v[60:61], v[8:9]
	s_delay_alu instid0(VALU_DEP_1) | instskip(NEXT) | instid1(VALU_DEP_1)
	v_fma_f64 v[6:7], -v[6:7], v[62:63], v[60:61]
	v_div_fmas_f64 v[6:7], v[6:7], v[8:9], v[62:63]
                                        ; implicit-def: $vgpr62_vgpr63
	s_delay_alu instid0(VALU_DEP_1)
	v_div_fixup_f64 v[2:3], v[6:7], v[4:5], v[2:3]
                                        ; implicit-def: $vgpr4_vgpr5
                                        ; implicit-def: $vgpr6_vgpr7
.LBB23_117:                             ;   in Loop: Header=BB23_66 Depth=2
	s_and_not1_saveexec_b32 s6, s6
	s_cbranch_execz .LBB23_119
; %bb.118:                              ;   in Loop: Header=BB23_66 Depth=2
	v_add_f64_e32 v[2:3], v[4:5], v[4:5]
	v_add_f64_e32 v[4:5], v[62:63], v[6:7]
	s_delay_alu instid0(VALU_DEP_1) | instskip(NEXT) | instid1(VALU_DEP_1)
	v_div_scale_f64 v[6:7], null, v[4:5], v[4:5], v[2:3]
	v_rcp_f64_e32 v[8:9], v[6:7]
	v_nop
	s_delay_alu instid0(TRANS32_DEP_1) | instskip(NEXT) | instid1(VALU_DEP_1)
	v_fma_f64 v[60:61], -v[6:7], v[8:9], 1.0
	v_fmac_f64_e32 v[8:9], v[8:9], v[60:61]
	s_delay_alu instid0(VALU_DEP_1) | instskip(NEXT) | instid1(VALU_DEP_1)
	v_fma_f64 v[60:61], -v[6:7], v[8:9], 1.0
	v_fmac_f64_e32 v[8:9], v[8:9], v[60:61]
	v_div_scale_f64 v[60:61], vcc_lo, v[2:3], v[4:5], v[2:3]
	s_delay_alu instid0(VALU_DEP_1) | instskip(NEXT) | instid1(VALU_DEP_1)
	v_mul_f64_e32 v[62:63], v[60:61], v[8:9]
	v_fma_f64 v[6:7], -v[6:7], v[62:63], v[60:61]
	s_delay_alu instid0(VALU_DEP_1) | instskip(NEXT) | instid1(VALU_DEP_1)
	v_div_fmas_f64 v[6:7], v[6:7], v[8:9], v[62:63]
	v_div_fixup_f64 v[2:3], v[6:7], v[4:5], v[2:3]
.LBB23_119:                             ;   in Loop: Header=BB23_66 Depth=2
	s_or_b32 exec_lo, exec_lo, s6
                                        ; implicit-def: $vgpr62_vgpr63
                                        ; implicit-def: $vgpr4_vgpr5
                                        ; implicit-def: $vgpr8_vgpr9
                                        ; implicit-def: $vgpr60_vgpr61
.LBB23_120:                             ;   in Loop: Header=BB23_66 Depth=2
	s_and_not1_saveexec_b32 s6, s7
	s_cbranch_execz .LBB23_128
; %bb.121:                              ;   in Loop: Header=BB23_66 Depth=2
	s_mov_b32 s7, exec_lo
	s_delay_alu instid0(VALU_DEP_2)
	v_cmpx_eq_f64_e32 0, v[62:63]
	s_cbranch_execz .LBB23_127
; %bb.122:                              ;   in Loop: Header=BB23_66 Depth=2
                                        ; implicit-def: $vgpr62_vgpr63
	s_and_saveexec_b32 s22, s2
	s_delay_alu instid0(SALU_CYCLE_1)
	s_xor_b32 s22, exec_lo, s22
	s_cbranch_execz .LBB23_124
; %bb.123:                              ;   in Loop: Header=BB23_66 Depth=2
	global_load_b64 v[2:3], v[30:31], off offset:8
                                        ; implicit-def: $vgpr8_vgpr9
	s_wait_loadcnt 0x0
	v_mul_f64_e32 v[62:63], v[2:3], v[2:3]
	v_mul_f64_e32 v[2:3], v[6:7], v[6:7]
	s_delay_alu instid0(VALU_DEP_1)
	v_fmac_f64_e32 v[62:63], v[60:61], v[2:3]
                                        ; implicit-def: $vgpr60_vgpr61
.LBB23_124:                             ;   in Loop: Header=BB23_66 Depth=2
	s_wait_xcnt 0x0
	s_and_not1_saveexec_b32 s22, s22
	s_cbranch_execz .LBB23_126
; %bb.125:                              ;   in Loop: Header=BB23_66 Depth=2
	global_load_b64 v[2:3], v[30:31], off
	s_wait_loadcnt 0x0
	v_mul_f64_e32 v[62:63], v[2:3], v[2:3]
	v_mul_f64_e32 v[2:3], v[8:9], v[8:9]
	s_delay_alu instid0(VALU_DEP_1)
	v_fmac_f64_e32 v[62:63], v[60:61], v[2:3]
.LBB23_126:                             ;   in Loop: Header=BB23_66 Depth=2
	s_wait_xcnt 0x0
	s_or_b32 exec_lo, exec_lo, s22
.LBB23_127:                             ;   in Loop: Header=BB23_66 Depth=2
	s_delay_alu instid0(SALU_CYCLE_1) | instskip(NEXT) | instid1(VALU_DEP_1)
	s_or_b32 exec_lo, exec_lo, s7
	v_div_scale_f64 v[2:3], null, v[62:63], v[62:63], v[4:5]
	s_delay_alu instid0(VALU_DEP_1) | instskip(SKIP_1) | instid1(TRANS32_DEP_1)
	v_rcp_f64_e32 v[6:7], v[2:3]
	v_nop
	v_fma_f64 v[8:9], -v[2:3], v[6:7], 1.0
	s_delay_alu instid0(VALU_DEP_1) | instskip(NEXT) | instid1(VALU_DEP_1)
	v_fmac_f64_e32 v[6:7], v[6:7], v[8:9]
	v_fma_f64 v[8:9], -v[2:3], v[6:7], 1.0
	s_delay_alu instid0(VALU_DEP_1) | instskip(SKIP_1) | instid1(VALU_DEP_1)
	v_fmac_f64_e32 v[6:7], v[6:7], v[8:9]
	v_div_scale_f64 v[8:9], vcc_lo, v[4:5], v[62:63], v[4:5]
	v_mul_f64_e32 v[60:61], v[8:9], v[6:7]
	s_delay_alu instid0(VALU_DEP_1) | instskip(NEXT) | instid1(VALU_DEP_1)
	v_fma_f64 v[2:3], -v[2:3], v[60:61], v[8:9]
	v_div_fmas_f64 v[2:3], v[2:3], v[6:7], v[60:61]
	s_delay_alu instid0(VALU_DEP_1)
	v_div_fixup_f64 v[2:3], v[2:3], v[62:63], v[4:5]
.LBB23_128:                             ;   in Loop: Header=BB23_66 Depth=2
	s_or_b32 exec_lo, exec_lo, s6
	s_delay_alu instid0(VALU_DEP_1) | instskip(SKIP_1) | instid1(VALU_DEP_1)
	v_mul_f64_e32 v[4:5], v[58:59], v[2:3]
	s_mov_b32 s6, exec_lo
	v_cmpx_le_f64_e32 0, v[4:5]
	s_cbranch_execz .LBB23_130
; %bb.129:                              ;   in Loop: Header=BB23_66 Depth=2
	v_div_scale_f64 v[2:3], null, v[56:57], v[56:57], -v[58:59]
	s_delay_alu instid0(VALU_DEP_1) | instskip(SKIP_1) | instid1(TRANS32_DEP_1)
	v_rcp_f64_e32 v[4:5], v[2:3]
	v_nop
	v_fma_f64 v[6:7], -v[2:3], v[4:5], 1.0
	s_delay_alu instid0(VALU_DEP_1) | instskip(NEXT) | instid1(VALU_DEP_1)
	v_fmac_f64_e32 v[4:5], v[4:5], v[6:7]
	v_fma_f64 v[6:7], -v[2:3], v[4:5], 1.0
	s_delay_alu instid0(VALU_DEP_1) | instskip(SKIP_1) | instid1(VALU_DEP_1)
	v_fmac_f64_e32 v[4:5], v[4:5], v[6:7]
	v_div_scale_f64 v[6:7], vcc_lo, -v[58:59], v[56:57], -v[58:59]
	v_mul_f64_e32 v[8:9], v[6:7], v[4:5]
	s_delay_alu instid0(VALU_DEP_1) | instskip(NEXT) | instid1(VALU_DEP_1)
	v_fma_f64 v[2:3], -v[2:3], v[8:9], v[6:7]
	v_div_fmas_f64 v[2:3], v[2:3], v[4:5], v[8:9]
	s_delay_alu instid0(VALU_DEP_1)
	v_div_fixup_f64 v[2:3], v[2:3], v[56:57], -v[58:59]
.LBB23_130:                             ;   in Loop: Header=BB23_66 Depth=2
	s_or_b32 exec_lo, exec_lo, s6
	v_cmp_lt_f64_e32 vcc_lo, v[50:51], v[48:49]
	v_cmp_lt_f64_e64 s6, 0, v[58:59]
	v_cmp_lt_f64_e64 s7, v[48:49], v[52:53]
	s_delay_alu instid0(VALU_DEP_4) | instskip(SKIP_3) | instid1(SALU_CYCLE_1)
	v_dual_add_f64 v[4:5], v[48:49], v[2:3] :: v_dual_cndmask_b32 v6, v50, v48, vcc_lo
	v_cndmask_b32_e32 v7, v51, v49, vcc_lo
	v_cmp_nge_f64_e32 vcc_lo, 0, v[58:59]
	s_and_b32 s6, s6, s7
	v_dual_cndmask_b32 v8, v52, v48, s6 :: v_dual_cndmask_b32 v9, v53, v49, s6
	s_delay_alu instid0(VALU_DEP_3) | instskip(NEXT) | instid1(VALU_DEP_2)
	v_dual_cndmask_b32 v7, v7, v51 :: v_dual_cndmask_b32 v6, v6, v50
	v_cmp_gt_f64_e32 vcc_lo, v[4:5], v[8:9]
	s_delay_alu instid0(VALU_DEP_2) | instskip(SKIP_1) | instid1(SALU_CYCLE_1)
	v_cmp_lt_f64_e64 s6, v[4:5], v[6:7]
	s_or_b32 s7, vcc_lo, s6
	s_and_saveexec_b32 s6, s7
	s_cbranch_execz .LBB23_136
; %bb.131:                              ;   in Loop: Header=BB23_66 Depth=2
	s_mov_b32 s7, exec_lo
                                        ; implicit-def: $vgpr2_vgpr3
	v_cmpx_ngt_f64_e32 0, v[58:59]
	s_xor_b32 s7, exec_lo, s7
	s_cbranch_execz .LBB23_133
; %bb.132:                              ;   in Loop: Header=BB23_66 Depth=2
	v_add_f64_e64 v[2:3], v[6:7], -v[48:49]
	s_delay_alu instid0(VALU_DEP_1)
	v_mul_f64_e32 v[2:3], 0.5, v[2:3]
.LBB23_133:                             ;   in Loop: Header=BB23_66 Depth=2
	s_and_not1_saveexec_b32 s7, s7
	s_cbranch_execz .LBB23_135
; %bb.134:                              ;   in Loop: Header=BB23_66 Depth=2
	v_add_f64_e64 v[2:3], v[8:9], -v[48:49]
	s_delay_alu instid0(VALU_DEP_1)
	v_mul_f64_e32 v[2:3], 0.5, v[2:3]
.LBB23_135:                             ;   in Loop: Header=BB23_66 Depth=2
	s_or_b32 exec_lo, exec_lo, s7
.LBB23_136:                             ;   in Loop: Header=BB23_66 Depth=2
	s_delay_alu instid0(SALU_CYCLE_1) | instskip(NEXT) | instid1(VALU_DEP_1)
	s_or_b32 exec_lo, exec_lo, s6
	v_add_f64_e64 v[54:55], v[54:55], -v[2:3]
	v_mov_b64_e32 v[52:53], 0
	v_mov_b64_e32 v[4:5], 0
	;; [unrolled: 1-line block ×3, first 2 shown]
	global_store_b64 v[38:39], v[54:55], off
	s_wait_xcnt 0x0
	s_and_saveexec_b32 s22, s4
	s_cbranch_execz .LBB23_140
; %bb.137:                              ;   in Loop: Header=BB23_66 Depth=2
	v_mov_b64_e32 v[52:53], 0
	v_mov_b64_e32 v[4:5], 0
	v_mov_b64_e32 v[50:51], 0
	v_mov_b64_e32 v[54:55], v[26:27]
	v_mov_b32_e32 v23, v36
	s_mov_b32 s52, 0
	s_mov_b64 s[6:7], s[66:67]
.LBB23_138:                             ;   Parent Loop BB23_4 Depth=1
                                        ;     Parent Loop BB23_66 Depth=2
                                        ; =>    This Inner Loop Header: Depth=3
	global_load_b64 v[56:57], v[54:55], off
	v_add_nc_u32_e32 v23, -1, v23
	s_wait_loadcnt 0x0
	v_add_f64_e64 v[56:57], v[56:57], -v[2:3]
	global_store_b64 v[54:55], v[56:57], off
	global_load_b64 v[60:61], v11, s[6:7]
	s_wait_xcnt 0x1
	v_add_nc_u64_e32 v[54:55], 8, v[54:55]
	s_wait_xcnt 0x0
	s_add_nc_u64 s[6:7], s[6:7], 8
	s_wait_loadcnt 0x0
	v_div_scale_f64 v[62:63], null, v[56:57], v[56:57], v[60:61]
	v_div_scale_f64 v[72:73], vcc_lo, v[60:61], v[56:57], v[60:61]
	s_delay_alu instid0(VALU_DEP_2) | instskip(SKIP_1) | instid1(TRANS32_DEP_1)
	v_rcp_f64_e32 v[64:65], v[62:63]
	v_nop
	v_fma_f64 v[70:71], -v[62:63], v[64:65], 1.0
	s_delay_alu instid0(VALU_DEP_1) | instskip(NEXT) | instid1(VALU_DEP_1)
	v_fmac_f64_e32 v[64:65], v[64:65], v[70:71]
	v_fma_f64 v[70:71], -v[62:63], v[64:65], 1.0
	s_delay_alu instid0(VALU_DEP_1) | instskip(NEXT) | instid1(VALU_DEP_1)
	v_fmac_f64_e32 v[64:65], v[64:65], v[70:71]
	v_mul_f64_e32 v[70:71], v[72:73], v[64:65]
	s_delay_alu instid0(VALU_DEP_1) | instskip(NEXT) | instid1(VALU_DEP_1)
	v_fma_f64 v[62:63], -v[62:63], v[70:71], v[72:73]
	v_div_fmas_f64 v[62:63], v[62:63], v[64:65], v[70:71]
	v_cmp_eq_u32_e32 vcc_lo, 0, v23
	s_or_b32 s52, vcc_lo, s52
	s_delay_alu instid0(VALU_DEP_2) | instskip(NEXT) | instid1(VALU_DEP_1)
	v_div_fixup_f64 v[56:57], v[62:63], v[56:57], v[60:61]
	v_fmac_f64_e32 v[50:51], v[60:61], v[56:57]
	v_fmac_f64_e32 v[52:53], v[56:57], v[56:57]
	s_delay_alu instid0(VALU_DEP_2)
	v_add_f64_e32 v[4:5], v[4:5], v[50:51]
	s_and_not1_b32 exec_lo, exec_lo, s52
	s_cbranch_execnz .LBB23_138
; %bb.139:                              ;   in Loop: Header=BB23_66 Depth=2
	s_or_b32 exec_lo, exec_lo, s52
	s_delay_alu instid0(VALU_DEP_1)
	v_and_b32_e32 v5, 0x7fffffff, v5
.LBB23_140:                             ;   in Loop: Header=BB23_66 Depth=2
	s_or_b32 exec_lo, exec_lo, s22
	v_mov_b64_e32 v[56:57], 0
	v_mov_b64_e32 v[64:65], 0
	s_and_saveexec_b32 s6, s3
	s_cbranch_execz .LBB23_144
; %bb.141:                              ;   in Loop: Header=BB23_66 Depth=2
	v_mov_b64_e32 v[56:57], 0
	v_mov_b64_e32 v[64:65], 0
	s_mov_b32 s7, 0
	s_mov_b32 s22, s72
.LBB23_142:                             ;   Parent Loop BB23_4 Depth=1
                                        ;     Parent Loop BB23_66 Depth=2
                                        ; =>    This Inner Loop Header: Depth=3
	s_delay_alu instid0(SALU_CYCLE_1)
	v_lshl_add_u64 v[54:55], s[22:23], 3, v[46:47]
	v_mov_b32_e32 v23, s22
	s_add_co_i32 s22, s22, -1
	global_load_b64 v[60:61], v[54:55], off
	s_wait_loadcnt 0x0
	v_add_f64_e64 v[60:61], v[60:61], -v[2:3]
	global_store_b64 v[54:55], v[60:61], off
	global_load_b64 v[54:55], v23, s[66:67] scale_offset
	s_wait_loadcnt 0x0
	v_div_scale_f64 v[62:63], null, v[60:61], v[60:61], v[54:55]
	v_div_scale_f64 v[74:75], vcc_lo, v[54:55], v[60:61], v[54:55]
	s_delay_alu instid0(VALU_DEP_2) | instskip(SKIP_1) | instid1(TRANS32_DEP_1)
	v_rcp_f64_e32 v[70:71], v[62:63]
	v_nop
	v_fma_f64 v[72:73], -v[62:63], v[70:71], 1.0
	s_delay_alu instid0(VALU_DEP_1) | instskip(NEXT) | instid1(VALU_DEP_1)
	v_fmac_f64_e32 v[70:71], v[70:71], v[72:73]
	v_fma_f64 v[72:73], -v[62:63], v[70:71], 1.0
	s_delay_alu instid0(VALU_DEP_1) | instskip(NEXT) | instid1(VALU_DEP_1)
	v_fmac_f64_e32 v[70:71], v[70:71], v[72:73]
	v_mul_f64_e32 v[72:73], v[74:75], v[70:71]
	s_delay_alu instid0(VALU_DEP_1) | instskip(NEXT) | instid1(VALU_DEP_1)
	v_fma_f64 v[62:63], -v[62:63], v[72:73], v[74:75]
	v_div_fmas_f64 v[62:63], v[62:63], v[70:71], v[72:73]
	v_cmp_le_u32_e32 vcc_lo, s22, v36
	s_or_b32 s7, vcc_lo, s7
	s_delay_alu instid0(VALU_DEP_2) | instskip(NEXT) | instid1(VALU_DEP_1)
	v_div_fixup_f64 v[60:61], v[62:63], v[60:61], v[54:55]
	v_fmac_f64_e32 v[64:65], v[54:55], v[60:61]
	v_fmac_f64_e32 v[56:57], v[60:61], v[60:61]
	s_delay_alu instid0(VALU_DEP_2)
	v_add_f64_e32 v[4:5], v[4:5], v[64:65]
	s_wait_xcnt 0x0
	s_and_not1_b32 exec_lo, exec_lo, s7
	s_cbranch_execnz .LBB23_142
; %bb.143:                              ;   in Loop: Header=BB23_66 Depth=2
	s_or_b32 exec_lo, exec_lo, s7
.LBB23_144:                             ;   in Loop: Header=BB23_66 Depth=2
	s_delay_alu instid0(SALU_CYCLE_1)
	s_or_b32 exec_lo, exec_lo, s6
	global_load_b64 v[70:71], v[40:41], off
	global_load_b64 v[54:55], v[38:39], off
	v_and_b32_e32 v73, 0x7fffffff, v59
	v_mov_b32_e32 v72, v58
	v_add_nc_u64_e32 v[44:45], s[80:81], v[44:45]
	s_mov_b32 s95, 1
	s_mov_b32 s22, 0
                                        ; implicit-def: $sgpr89
	s_delay_alu instid0(VALU_DEP_2) | instskip(NEXT) | instid1(VALU_DEP_1)
	v_div_scale_f64 v[74:75], null, 0x40240000, 0x40240000, v[72:73]
	v_rcp_f64_e32 v[76:77], v[74:75]
	s_wait_loadcnt 0x0
	v_div_scale_f64 v[46:47], null, v[54:55], v[54:55], v[70:71]
	v_div_scale_f64 v[78:79], vcc_lo, v[70:71], v[54:55], v[70:71]
	s_delay_alu instid0(VALU_DEP_2) | instskip(SKIP_1) | instid1(TRANS32_DEP_1)
	v_rcp_f64_e32 v[60:61], v[46:47]
	v_nop
	v_fma_f64 v[62:63], -v[46:47], v[60:61], 1.0
	s_delay_alu instid0(VALU_DEP_1) | instskip(NEXT) | instid1(VALU_DEP_1)
	v_fmac_f64_e32 v[60:61], v[60:61], v[62:63]
	v_fma_f64 v[62:63], -v[46:47], v[60:61], 1.0
	s_delay_alu instid0(VALU_DEP_1) | instskip(NEXT) | instid1(TRANS32_DEP_2)
	v_fmac_f64_e32 v[60:61], v[60:61], v[62:63]
	v_fma_f64 v[62:63], -v[74:75], v[76:77], 1.0
	s_delay_alu instid0(VALU_DEP_2) | instskip(NEXT) | instid1(VALU_DEP_2)
	v_mul_f64_e32 v[80:81], v[78:79], v[60:61]
	v_fmac_f64_e32 v[76:77], v[76:77], v[62:63]
	s_delay_alu instid0(VALU_DEP_2) | instskip(NEXT) | instid1(VALU_DEP_2)
	v_fma_f64 v[46:47], -v[46:47], v[80:81], v[78:79]
	v_fma_f64 v[62:63], -v[74:75], v[76:77], 1.0
	s_delay_alu instid0(VALU_DEP_2) | instskip(NEXT) | instid1(VALU_DEP_2)
	v_div_fmas_f64 v[46:47], v[46:47], v[60:61], v[80:81]
	v_fmac_f64_e32 v[76:77], v[76:77], v[62:63]
	v_add_f64_e64 v[80:81], v[64:65], -v[50:51]
	s_delay_alu instid0(VALU_DEP_3) | instskip(SKIP_2) | instid1(VALU_DEP_3)
	v_div_fixup_f64 v[62:63], v[46:47], v[54:55], v[70:71]
	v_add_f64_e32 v[46:47], v[16:17], v[50:51]
	v_div_scale_f64 v[72:73], vcc_lo, v[72:73], 0x40240000, v[72:73]
	v_mul_f64_e32 v[82:83], v[70:71], v[62:63]
	s_delay_alu instid0(VALU_DEP_3) | instskip(SKIP_2) | instid1(VALU_DEP_1)
	v_add_f64_e32 v[50:51], v[46:47], v[64:65]
	v_add_f64_e32 v[46:47], v[48:49], v[2:3]
	v_fmamk_f64 v[64:65], v[80:81], 0x40200000, v[18:19]
	v_fma_f64 v[2:3], 0x40080000, |v[82:83]|, v[64:65]
	s_delay_alu instid0(VALU_DEP_4) | instskip(SKIP_1) | instid1(VALU_DEP_2)
	v_fmac_f64_e32 v[50:51], v[70:71], v[62:63]
	v_mul_f64_e32 v[78:79], v[72:73], v[76:77]
	v_xor_b32_e32 v23, 0x80000000, v51
	s_delay_alu instid0(VALU_DEP_2) | instskip(SKIP_1) | instid1(VALU_DEP_2)
	v_fma_f64 v[72:73], -v[74:75], v[78:79], v[72:73]
	v_add_f64_e32 v[60:61], v[52:53], v[56:57]
	v_div_fmas_f64 v[48:49], v[72:73], v[76:77], v[78:79]
	s_delay_alu instid0(VALU_DEP_1) | instskip(SKIP_1) | instid1(VALU_DEP_4)
	v_div_fixup_f64 v[48:49], v[48:49], 0x40240000, |v[58:59]|
	v_cndmask_b32_e64 v59, v51, v23, s5
	v_fmac_f64_e32 v[60:61], v[62:63], v[62:63]
	v_mov_b32_e32 v58, v50
	s_delay_alu instid0(VALU_DEP_1) | instskip(NEXT) | instid1(VALU_DEP_3)
	v_cmp_gt_f64_e64 s90, v[58:59], v[48:49]
	v_fma_f64 v[2:3], |v[46:47]|, v[60:61], v[2:3]
	s_delay_alu instid0(VALU_DEP_1)
	v_add_f64_e32 v[2:3], v[4:5], v[2:3]
	s_branch .LBB23_147
.LBB23_145:                             ;   in Loop: Header=BB23_147 Depth=3
	s_or_b32 exec_lo, exec_lo, s5
	global_load_b64 v[64:65], v[40:41], off
	global_load_b64 v[54:55], v[38:39], off
	v_and_b32_e32 v73, 0x7fffffff, v51
	v_add_f64_e32 v[46:47], v[46:47], v[48:49]
	s_add_co_i32 s95, s95, 1
	s_wait_loadcnt 0x0
	v_div_scale_f64 v[60:61], null, v[54:55], v[54:55], v[64:65]
	s_delay_alu instid0(VALU_DEP_1) | instskip(SKIP_1) | instid1(TRANS32_DEP_1)
	v_rcp_f64_e32 v[62:63], v[60:61]
	v_nop
	v_fma_f64 v[70:71], -v[60:61], v[62:63], 1.0
	s_delay_alu instid0(VALU_DEP_1) | instskip(NEXT) | instid1(VALU_DEP_1)
	v_fmac_f64_e32 v[62:63], v[62:63], v[70:71]
	v_fma_f64 v[76:77], -v[60:61], v[62:63], 1.0
	s_delay_alu instid0(VALU_DEP_1) | instskip(SKIP_2) | instid1(VALU_DEP_1)
	v_fmac_f64_e32 v[62:63], v[62:63], v[76:77]
	v_div_scale_f64 v[76:77], vcc_lo, v[64:65], v[54:55], v[64:65]
	v_mov_b32_e32 v72, v50
	v_div_scale_f64 v[74:75], null, 0x40240000, 0x40240000, v[72:73]
	s_delay_alu instid0(VALU_DEP_1) | instskip(SKIP_1) | instid1(TRANS32_DEP_1)
	v_rcp_f64_e32 v[70:71], v[74:75]
	v_nop
	v_fma_f64 v[78:79], -v[74:75], v[70:71], 1.0
	s_delay_alu instid0(VALU_DEP_1) | instskip(SKIP_2) | instid1(VALU_DEP_3)
	v_fmac_f64_e32 v[70:71], v[70:71], v[78:79]
	v_mul_f64_e32 v[78:79], v[76:77], v[62:63]
	v_div_scale_f64 v[72:73], s5, v[72:73], 0x40240000, v[72:73]
	v_fma_f64 v[80:81], -v[74:75], v[70:71], 1.0
	s_delay_alu instid0(VALU_DEP_3) | instskip(SKIP_2) | instid1(VALU_DEP_4)
	v_fma_f64 v[60:61], -v[60:61], v[78:79], v[76:77]
	v_add_f64_e32 v[76:77], v[16:17], v[4:5]
	v_add_f64_e64 v[4:5], v[58:59], -v[4:5]
	v_fmac_f64_e32 v[70:71], v[70:71], v[80:81]
	s_delay_alu instid0(VALU_DEP_4) | instskip(NEXT) | instid1(VALU_DEP_4)
	v_div_fmas_f64 v[60:61], v[60:61], v[62:63], v[78:79]
	v_add_f64_e32 v[76:77], v[76:77], v[58:59]
	s_mov_b32 vcc_lo, s5
	s_delay_alu instid0(VALU_DEP_4) | instskip(NEXT) | instid1(VALU_DEP_4)
	v_fmamk_f64 v[4:5], v[4:5], 0x40200000, v[18:19]
	v_mul_f64_e32 v[78:79], v[72:73], v[70:71]
	s_delay_alu instid0(VALU_DEP_4) | instskip(SKIP_1) | instid1(VALU_DEP_3)
	v_div_fixup_f64 v[62:63], v[60:61], v[54:55], v[64:65]
	v_add_f64_e32 v[60:61], v[52:53], v[56:57]
	v_fma_f64 v[72:73], -v[74:75], v[78:79], v[72:73]
	s_delay_alu instid0(VALU_DEP_3) | instskip(SKIP_1) | instid1(VALU_DEP_4)
	v_mul_f64_e32 v[58:59], v[64:65], v[62:63]
	v_fmac_f64_e32 v[76:77], v[64:65], v[62:63]
	v_fmac_f64_e32 v[60:61], v[62:63], v[62:63]
	s_delay_alu instid0(VALU_DEP_4) | instskip(NEXT) | instid1(VALU_DEP_4)
	v_div_fmas_f64 v[64:65], v[72:73], v[70:71], v[78:79]
	v_fma_f64 v[4:5], 0x40080000, |v[58:59]|, v[4:5]
	s_delay_alu instid0(VALU_DEP_4) | instskip(NEXT) | instid1(VALU_DEP_3)
	v_mul_f64_e32 v[48:49], v[50:51], v[76:77]
	v_div_fixup_f64 v[50:51], v[64:65], 0x40240000, |v[50:51]|
	s_delay_alu instid0(VALU_DEP_3) | instskip(NEXT) | instid1(VALU_DEP_3)
	v_fma_f64 v[4:5], |v[46:47]|, v[60:61], v[4:5]
	v_cmp_lt_f64_e32 vcc_lo, 0, v[48:49]
	s_delay_alu instid0(VALU_DEP_3) | instskip(NEXT) | instid1(VALU_DEP_3)
	v_cmp_gt_f64_e64 s5, |v[76:77]|, v[50:51]
	v_add_f64_e32 v[2:3], v[2:3], v[4:5]
	v_mov_b64_e32 v[50:51], v[76:77]
	s_and_b32 s5, vcc_lo, s5
	s_delay_alu instid0(SALU_CYCLE_1) | instskip(SKIP_4) | instid1(SALU_CYCLE_1)
	s_xor_b32 s5, s90, s5
	s_cmp_eq_u32 s95, 50
                                        ; implicit-def: $sgpr90
	s_cselect_b32 s6, -1, 0
	s_and_not1_b32 s7, s89, exec_lo
	s_and_b32 s6, s6, exec_lo
	s_or_b32 s89, s7, s6
.LBB23_146:                             ;   in Loop: Header=BB23_147 Depth=3
	s_wait_xcnt 0x0
	s_or_b32 exec_lo, exec_lo, s52
	s_delay_alu instid0(SALU_CYCLE_1) | instskip(NEXT) | instid1(SALU_CYCLE_1)
	s_and_b32 s6, exec_lo, s89
	s_or_b32 s22, s6, s22
	s_and_not1_b32 s6, s90, exec_lo
	s_and_b32 s5, s5, exec_lo
	s_delay_alu instid0(SALU_CYCLE_1)
	s_or_b32 s90, s6, s5
	s_and_not1_b32 exec_lo, exec_lo, s22
	s_cbranch_execz .LBB23_194
.LBB23_147:                             ;   Parent Loop BB23_4 Depth=1
                                        ;     Parent Loop BB23_66 Depth=2
                                        ; =>    This Loop Header: Depth=3
                                        ;         Child Loop BB23_188 Depth 4
                                        ;         Child Loop BB23_192 Depth 4
	s_delay_alu instid0(VALU_DEP_1) | instskip(SKIP_1) | instid1(VALU_DEP_1)
	v_mul_f64_e32 v[2:3], s[18:19], v[2:3]
	s_or_b32 s89, s89, exec_lo
                                        ; implicit-def: $sgpr5
	v_cmp_nle_f64_e64 s6, |v[50:51]|, v[2:3]
                                        ; implicit-def: $vgpr2_vgpr3
	s_wait_xcnt 0x0
	s_and_saveexec_b32 s52, s6
	s_cbranch_execz .LBB23_146
; %bb.148:                              ;   in Loop: Header=BB23_147 Depth=3
	global_load_b128 v[2:5], v[28:29], off
	s_xor_b32 s6, s90, -1
                                        ; implicit-def: $vgpr64_vgpr65
	s_wait_xcnt 0x0
	s_and_saveexec_b32 s5, s6
	s_delay_alu instid0(SALU_CYCLE_1)
	s_xor_b32 s5, exec_lo, s5
	s_cbranch_execz .LBB23_154
; %bb.149:                              ;   in Loop: Header=BB23_147 Depth=3
	v_mul_f64_e32 v[48:49], v[62:63], v[62:63]
	s_and_saveexec_b32 s7, s2
	s_delay_alu instid0(SALU_CYCLE_1)
	s_xor_b32 s7, exec_lo, s7
; %bb.150:                              ;   in Loop: Header=BB23_147 Depth=3
	s_delay_alu instid0(VALU_DEP_1)
	v_add_f64_e32 v[56:57], v[48:49], v[56:57]
                                        ; implicit-def: $vgpr48_vgpr49
; %bb.151:                              ;   in Loop: Header=BB23_147 Depth=3
	s_and_not1_saveexec_b32 s7, s7
; %bb.152:                              ;   in Loop: Header=BB23_147 Depth=3
	v_add_f64_e32 v[52:53], v[48:49], v[52:53]
; %bb.153:                              ;   in Loop: Header=BB23_147 Depth=3
	s_or_b32 exec_lo, exec_lo, s7
	s_wait_loadcnt 0x0
	s_delay_alu instid0(VALU_DEP_1) | instskip(NEXT) | instid1(VALU_DEP_1)
	v_fma_f64 v[48:49], -v[2:3], v[52:53], v[50:51]
	v_fma_f64 v[64:65], -v[4:5], v[56:57], v[48:49]
.LBB23_154:                             ;   in Loop: Header=BB23_147 Depth=3
	s_and_not1_saveexec_b32 s5, s5
	s_cbranch_execz .LBB23_160
; %bb.155:                              ;   in Loop: Header=BB23_147 Depth=3
                                        ; implicit-def: $vgpr64_vgpr65
	s_and_saveexec_b32 s7, s2
	s_delay_alu instid0(SALU_CYCLE_1)
	s_xor_b32 s7, exec_lo, s7
	s_cbranch_execz .LBB23_157
; %bb.156:                              ;   in Loop: Header=BB23_147 Depth=3
	global_load_b64 v[48:49], v[30:31], off offset:8
	s_wait_loadcnt 0x0
	v_mul_f64_e32 v[58:59], v[32:33], v[48:49]
	s_delay_alu instid0(VALU_DEP_1) | instskip(NEXT) | instid1(VALU_DEP_1)
	v_mul_f64_e32 v[48:49], v[48:49], v[58:59]
	v_div_scale_f64 v[58:59], null, v[4:5], v[4:5], v[48:49]
	v_div_scale_f64 v[70:71], vcc_lo, v[48:49], v[4:5], v[48:49]
	s_delay_alu instid0(VALU_DEP_2) | instskip(SKIP_1) | instid1(TRANS32_DEP_1)
	v_rcp_f64_e32 v[62:63], v[58:59]
	v_nop
	v_fma_f64 v[64:65], -v[58:59], v[62:63], 1.0
	s_delay_alu instid0(VALU_DEP_1) | instskip(NEXT) | instid1(VALU_DEP_1)
	v_fmac_f64_e32 v[62:63], v[62:63], v[64:65]
	v_fma_f64 v[64:65], -v[58:59], v[62:63], 1.0
	s_delay_alu instid0(VALU_DEP_1) | instskip(NEXT) | instid1(VALU_DEP_1)
	v_fmac_f64_e32 v[62:63], v[62:63], v[64:65]
	v_mul_f64_e32 v[64:65], v[70:71], v[62:63]
	s_delay_alu instid0(VALU_DEP_1) | instskip(NEXT) | instid1(VALU_DEP_1)
	v_fma_f64 v[58:59], -v[58:59], v[64:65], v[70:71]
	v_div_fmas_f64 v[58:59], v[58:59], v[62:63], v[64:65]
	s_delay_alu instid0(VALU_DEP_1) | instskip(NEXT) | instid1(VALU_DEP_1)
	v_div_fixup_f64 v[48:49], v[58:59], v[4:5], v[48:49]
	v_div_scale_f64 v[58:59], null, v[4:5], v[4:5], v[48:49]
	s_delay_alu instid0(VALU_DEP_1) | instskip(SKIP_1) | instid1(TRANS32_DEP_1)
	v_rcp_f64_e32 v[62:63], v[58:59]
	v_nop
	v_fma_f64 v[64:65], -v[58:59], v[62:63], 1.0
	s_delay_alu instid0(VALU_DEP_1) | instskip(NEXT) | instid1(VALU_DEP_1)
	v_fmac_f64_e32 v[62:63], v[62:63], v[64:65]
	v_fma_f64 v[64:65], -v[58:59], v[62:63], 1.0
	s_delay_alu instid0(VALU_DEP_1) | instskip(SKIP_1) | instid1(VALU_DEP_1)
	v_fmac_f64_e32 v[62:63], v[62:63], v[64:65]
	v_div_scale_f64 v[64:65], vcc_lo, v[48:49], v[4:5], v[48:49]
	v_mul_f64_e32 v[70:71], v[64:65], v[62:63]
	s_delay_alu instid0(VALU_DEP_1) | instskip(NEXT) | instid1(VALU_DEP_1)
	v_fma_f64 v[58:59], -v[58:59], v[70:71], v[64:65]
	v_div_fmas_f64 v[58:59], v[58:59], v[62:63], v[70:71]
	v_fma_f64 v[62:63], -v[60:61], v[2:3], v[50:51]
	s_delay_alu instid0(VALU_DEP_2) | instskip(NEXT) | instid1(VALU_DEP_1)
	v_div_fixup_f64 v[48:49], v[58:59], v[4:5], v[48:49]
	v_add_f64_e64 v[64:65], v[62:63], -v[48:49]
.LBB23_157:                             ;   in Loop: Header=BB23_147 Depth=3
	s_wait_xcnt 0x0
	s_and_not1_saveexec_b32 s7, s7
	s_cbranch_execz .LBB23_159
; %bb.158:                              ;   in Loop: Header=BB23_147 Depth=3
	global_load_b64 v[48:49], v[30:31], off
	s_wait_loadcnt 0x0
	v_mul_f64_e32 v[58:59], v[42:43], v[48:49]
	s_delay_alu instid0(VALU_DEP_1) | instskip(NEXT) | instid1(VALU_DEP_1)
	v_mul_f64_e32 v[48:49], v[48:49], v[58:59]
	v_div_scale_f64 v[58:59], null, v[2:3], v[2:3], v[48:49]
	v_div_scale_f64 v[70:71], vcc_lo, v[48:49], v[2:3], v[48:49]
	s_delay_alu instid0(VALU_DEP_2) | instskip(SKIP_1) | instid1(TRANS32_DEP_1)
	v_rcp_f64_e32 v[62:63], v[58:59]
	v_nop
	v_fma_f64 v[64:65], -v[58:59], v[62:63], 1.0
	s_delay_alu instid0(VALU_DEP_1) | instskip(NEXT) | instid1(VALU_DEP_1)
	v_fmac_f64_e32 v[62:63], v[62:63], v[64:65]
	v_fma_f64 v[64:65], -v[58:59], v[62:63], 1.0
	s_delay_alu instid0(VALU_DEP_1) | instskip(NEXT) | instid1(VALU_DEP_1)
	v_fmac_f64_e32 v[62:63], v[62:63], v[64:65]
	v_mul_f64_e32 v[64:65], v[70:71], v[62:63]
	s_delay_alu instid0(VALU_DEP_1) | instskip(NEXT) | instid1(VALU_DEP_1)
	v_fma_f64 v[58:59], -v[58:59], v[64:65], v[70:71]
	v_div_fmas_f64 v[58:59], v[58:59], v[62:63], v[64:65]
	s_delay_alu instid0(VALU_DEP_1) | instskip(NEXT) | instid1(VALU_DEP_1)
	v_div_fixup_f64 v[48:49], v[58:59], v[2:3], v[48:49]
	v_div_scale_f64 v[58:59], null, v[2:3], v[2:3], v[48:49]
	s_delay_alu instid0(VALU_DEP_1) | instskip(SKIP_1) | instid1(TRANS32_DEP_1)
	v_rcp_f64_e32 v[62:63], v[58:59]
	v_nop
	v_fma_f64 v[64:65], -v[58:59], v[62:63], 1.0
	s_delay_alu instid0(VALU_DEP_1) | instskip(NEXT) | instid1(VALU_DEP_1)
	v_fmac_f64_e32 v[62:63], v[62:63], v[64:65]
	v_fma_f64 v[64:65], -v[58:59], v[62:63], 1.0
	s_delay_alu instid0(VALU_DEP_1) | instskip(SKIP_1) | instid1(VALU_DEP_1)
	v_fmac_f64_e32 v[62:63], v[62:63], v[64:65]
	v_div_scale_f64 v[64:65], vcc_lo, v[48:49], v[2:3], v[48:49]
	v_mul_f64_e32 v[70:71], v[64:65], v[62:63]
	s_delay_alu instid0(VALU_DEP_1) | instskip(NEXT) | instid1(VALU_DEP_1)
	v_fma_f64 v[58:59], -v[58:59], v[70:71], v[64:65]
	v_div_fmas_f64 v[58:59], v[58:59], v[62:63], v[70:71]
	v_fma_f64 v[62:63], -v[60:61], v[4:5], v[50:51]
	s_delay_alu instid0(VALU_DEP_2) | instskip(NEXT) | instid1(VALU_DEP_1)
	v_div_fixup_f64 v[48:49], v[58:59], v[2:3], v[48:49]
	v_add_f64_e64 v[64:65], v[62:63], -v[48:49]
.LBB23_159:                             ;   in Loop: Header=BB23_147 Depth=3
	s_wait_xcnt 0x0
	s_or_b32 exec_lo, exec_lo, s7
.LBB23_160:                             ;   in Loop: Header=BB23_147 Depth=3
	s_delay_alu instid0(SALU_CYCLE_1) | instskip(SKIP_4) | instid1(VALU_DEP_2)
	s_or_b32 exec_lo, exec_lo, s5
	s_wait_loadcnt 0x0
	v_mul_f64_e32 v[48:49], v[2:3], v[4:5]
	v_add_f64_e32 v[62:63], v[2:3], v[4:5]
	s_mov_b32 s5, exec_lo
	v_mul_f64_e32 v[70:71], v[60:61], v[48:49]
	v_mul_f64_e32 v[58:59], v[50:51], v[48:49]
                                        ; implicit-def: $vgpr48_vgpr49
	s_delay_alu instid0(VALU_DEP_2)
	v_fma_f64 v[62:63], v[50:51], v[62:63], -v[70:71]
	v_cmpx_neq_f64_e32 0, v[64:65]
	s_xor_b32 s7, exec_lo, s5
	s_cbranch_execz .LBB23_166
; %bb.161:                              ;   in Loop: Header=BB23_147 Depth=3
	s_delay_alu instid0(VALU_DEP_3) | instskip(NEXT) | instid1(VALU_DEP_1)
	v_mul_f64_e32 v[2:3], -4.0, v[58:59]
	v_mul_f64_e32 v[2:3], v[2:3], v[64:65]
	s_delay_alu instid0(VALU_DEP_1) | instskip(NEXT) | instid1(VALU_DEP_1)
	v_fmac_f64_e32 v[2:3], v[62:63], v[62:63]
	v_cmp_gt_f64_e64 s5, 0x10000000, |v[2:3]|
	s_delay_alu instid0(VALU_DEP_1) | instskip(NEXT) | instid1(VALU_DEP_1)
	v_cndmask_b32_e64 v4, 0, 0x100, s5
	v_ldexp_f64 v[2:3], |v[2:3]|, v4
	s_delay_alu instid0(VALU_DEP_1) | instskip(SKIP_1) | instid1(TRANS32_DEP_1)
	v_rsq_f64_e32 v[4:5], v[2:3]
	v_cmp_class_f64_e64 vcc_lo, v[2:3], 0x260
	v_mul_f64_e32 v[48:49], v[2:3], v[4:5]
	v_mul_f64_e32 v[4:5], 0.5, v[4:5]
	s_delay_alu instid0(VALU_DEP_1) | instskip(NEXT) | instid1(VALU_DEP_1)
	v_fma_f64 v[52:53], -v[4:5], v[48:49], 0.5
	v_fmac_f64_e32 v[48:49], v[48:49], v[52:53]
	v_fmac_f64_e32 v[4:5], v[4:5], v[52:53]
	s_delay_alu instid0(VALU_DEP_2) | instskip(NEXT) | instid1(VALU_DEP_1)
	v_fma_f64 v[52:53], -v[48:49], v[48:49], v[2:3]
	v_fmac_f64_e32 v[48:49], v[52:53], v[4:5]
	s_delay_alu instid0(VALU_DEP_1) | instskip(NEXT) | instid1(VALU_DEP_1)
	v_fma_f64 v[52:53], -v[48:49], v[48:49], v[2:3]
	v_fmac_f64_e32 v[48:49], v[52:53], v[4:5]
	v_cndmask_b32_e64 v4, 0, 0xffffff80, s5
	v_cmp_ge_f64_e64 s5, 0, v[62:63]
	s_delay_alu instid0(VALU_DEP_2) | instskip(NEXT) | instid1(VALU_DEP_1)
	v_ldexp_f64 v[4:5], v[48:49], v4
                                        ; implicit-def: $vgpr48_vgpr49
	v_dual_cndmask_b32 v3, v5, v3 :: v_dual_cndmask_b32 v2, v4, v2
	s_and_saveexec_b32 s53, s5
	s_delay_alu instid0(SALU_CYCLE_1)
	s_xor_b32 s5, exec_lo, s53
	s_cbranch_execz .LBB23_163
; %bb.162:                              ;   in Loop: Header=BB23_147 Depth=3
	s_delay_alu instid0(VALU_DEP_1) | instskip(SKIP_1) | instid1(VALU_DEP_1)
	v_add_f64_e64 v[2:3], v[62:63], -v[2:3]
	v_add_f64_e32 v[4:5], v[64:65], v[64:65]
                                        ; implicit-def: $vgpr62_vgpr63
	v_div_scale_f64 v[48:49], null, v[4:5], v[4:5], v[2:3]
	s_delay_alu instid0(VALU_DEP_1) | instskip(SKIP_1) | instid1(TRANS32_DEP_1)
	v_rcp_f64_e32 v[52:53], v[48:49]
	v_nop
	v_fma_f64 v[56:57], -v[48:49], v[52:53], 1.0
	s_delay_alu instid0(VALU_DEP_1) | instskip(NEXT) | instid1(VALU_DEP_1)
	v_fmac_f64_e32 v[52:53], v[52:53], v[56:57]
	v_fma_f64 v[56:57], -v[48:49], v[52:53], 1.0
	s_delay_alu instid0(VALU_DEP_1) | instskip(SKIP_1) | instid1(VALU_DEP_1)
	v_fmac_f64_e32 v[52:53], v[52:53], v[56:57]
	v_div_scale_f64 v[56:57], vcc_lo, v[2:3], v[4:5], v[2:3]
	v_mul_f64_e32 v[58:59], v[56:57], v[52:53]
	s_delay_alu instid0(VALU_DEP_1) | instskip(NEXT) | instid1(VALU_DEP_1)
	v_fma_f64 v[48:49], -v[48:49], v[58:59], v[56:57]
	v_div_fmas_f64 v[48:49], v[48:49], v[52:53], v[58:59]
                                        ; implicit-def: $vgpr58_vgpr59
	s_delay_alu instid0(VALU_DEP_1)
	v_div_fixup_f64 v[48:49], v[48:49], v[4:5], v[2:3]
                                        ; implicit-def: $vgpr2_vgpr3
.LBB23_163:                             ;   in Loop: Header=BB23_147 Depth=3
	s_and_not1_saveexec_b32 s5, s5
	s_cbranch_execz .LBB23_165
; %bb.164:                              ;   in Loop: Header=BB23_147 Depth=3
	v_add_f64_e32 v[4:5], v[58:59], v[58:59]
	v_add_f64_e32 v[2:3], v[62:63], v[2:3]
	s_delay_alu instid0(VALU_DEP_1) | instskip(NEXT) | instid1(VALU_DEP_1)
	v_div_scale_f64 v[48:49], null, v[2:3], v[2:3], v[4:5]
	v_rcp_f64_e32 v[52:53], v[48:49]
	v_nop
	s_delay_alu instid0(TRANS32_DEP_1) | instskip(NEXT) | instid1(VALU_DEP_1)
	v_fma_f64 v[56:57], -v[48:49], v[52:53], 1.0
	v_fmac_f64_e32 v[52:53], v[52:53], v[56:57]
	s_delay_alu instid0(VALU_DEP_1) | instskip(NEXT) | instid1(VALU_DEP_1)
	v_fma_f64 v[56:57], -v[48:49], v[52:53], 1.0
	v_fmac_f64_e32 v[52:53], v[52:53], v[56:57]
	v_div_scale_f64 v[56:57], vcc_lo, v[4:5], v[2:3], v[4:5]
	s_delay_alu instid0(VALU_DEP_1) | instskip(NEXT) | instid1(VALU_DEP_1)
	v_mul_f64_e32 v[58:59], v[56:57], v[52:53]
	v_fma_f64 v[48:49], -v[48:49], v[58:59], v[56:57]
	s_delay_alu instid0(VALU_DEP_1) | instskip(NEXT) | instid1(VALU_DEP_1)
	v_div_fmas_f64 v[48:49], v[48:49], v[52:53], v[58:59]
	v_div_fixup_f64 v[48:49], v[48:49], v[2:3], v[4:5]
.LBB23_165:                             ;   in Loop: Header=BB23_147 Depth=3
	s_or_b32 exec_lo, exec_lo, s5
                                        ; implicit-def: $vgpr62_vgpr63
                                        ; implicit-def: $vgpr58_vgpr59
                                        ; implicit-def: $vgpr2_vgpr3
                                        ; implicit-def: $vgpr56_vgpr57
                                        ; implicit-def: $vgpr52_vgpr53
.LBB23_166:                             ;   in Loop: Header=BB23_147 Depth=3
	s_and_not1_saveexec_b32 s5, s7
	s_cbranch_execz .LBB23_178
; %bb.167:                              ;   in Loop: Header=BB23_147 Depth=3
	s_mov_b32 s7, exec_lo
	s_delay_alu instid0(VALU_DEP_2)
	v_cmpx_eq_f64_e32 0, v[62:63]
	s_cbranch_execz .LBB23_177
; %bb.168:                              ;   in Loop: Header=BB23_147 Depth=3
                                        ; implicit-def: $vgpr62_vgpr63
	s_and_saveexec_b32 s53, s6
	s_delay_alu instid0(SALU_CYCLE_1)
	s_xor_b32 s6, exec_lo, s53
	s_cbranch_execz .LBB23_170
; %bb.169:                              ;   in Loop: Header=BB23_147 Depth=3
	v_mul_f64_e32 v[4:5], v[4:5], v[4:5]
	v_mul_f64_e32 v[2:3], v[2:3], v[2:3]
	s_delay_alu instid0(VALU_DEP_2) | instskip(NEXT) | instid1(VALU_DEP_1)
	v_mul_f64_e32 v[62:63], v[4:5], v[56:57]
                                        ; implicit-def: $vgpr56_vgpr57
	v_fmac_f64_e32 v[62:63], v[2:3], v[52:53]
                                        ; implicit-def: $vgpr4_vgpr5
                                        ; implicit-def: $vgpr52_vgpr53
.LBB23_170:                             ;   in Loop: Header=BB23_147 Depth=3
	s_and_not1_saveexec_b32 s6, s6
	s_cbranch_execz .LBB23_176
; %bb.171:                              ;   in Loop: Header=BB23_147 Depth=3
	v_add_f64_e32 v[48:49], v[52:53], v[56:57]
                                        ; implicit-def: $vgpr62_vgpr63
	s_and_saveexec_b32 s53, s2
	s_delay_alu instid0(SALU_CYCLE_1)
	s_xor_b32 s53, exec_lo, s53
	s_cbranch_execz .LBB23_173
; %bb.172:                              ;   in Loop: Header=BB23_147 Depth=3
	global_load_b64 v[4:5], v[30:31], off offset:8
	v_mul_f64_e32 v[2:3], v[2:3], v[2:3]
	s_wait_loadcnt 0x0
	v_mul_f64_e32 v[62:63], v[4:5], v[4:5]
                                        ; implicit-def: $vgpr4_vgpr5
	s_delay_alu instid0(VALU_DEP_1)
	v_fmac_f64_e32 v[62:63], v[2:3], v[48:49]
                                        ; implicit-def: $vgpr48_vgpr49
.LBB23_173:                             ;   in Loop: Header=BB23_147 Depth=3
	s_wait_xcnt 0x0
	s_and_not1_saveexec_b32 s53, s53
	s_cbranch_execz .LBB23_175
; %bb.174:                              ;   in Loop: Header=BB23_147 Depth=3
	global_load_b64 v[2:3], v[30:31], off
	s_wait_loadcnt 0x0
	v_mul_f64_e32 v[62:63], v[2:3], v[2:3]
	v_mul_f64_e32 v[2:3], v[4:5], v[4:5]
	s_delay_alu instid0(VALU_DEP_1)
	v_fmac_f64_e32 v[62:63], v[2:3], v[48:49]
.LBB23_175:                             ;   in Loop: Header=BB23_147 Depth=3
	s_wait_xcnt 0x0
	s_or_b32 exec_lo, exec_lo, s53
.LBB23_176:                             ;   in Loop: Header=BB23_147 Depth=3
	s_delay_alu instid0(SALU_CYCLE_1)
	s_or_b32 exec_lo, exec_lo, s6
.LBB23_177:                             ;   in Loop: Header=BB23_147 Depth=3
	s_delay_alu instid0(SALU_CYCLE_1) | instskip(NEXT) | instid1(VALU_DEP_1)
	s_or_b32 exec_lo, exec_lo, s7
	v_div_scale_f64 v[2:3], null, v[62:63], v[62:63], v[58:59]
	s_delay_alu instid0(VALU_DEP_1) | instskip(SKIP_1) | instid1(TRANS32_DEP_1)
	v_rcp_f64_e32 v[4:5], v[2:3]
	v_nop
	v_fma_f64 v[48:49], -v[2:3], v[4:5], 1.0
	s_delay_alu instid0(VALU_DEP_1) | instskip(NEXT) | instid1(VALU_DEP_1)
	v_fmac_f64_e32 v[4:5], v[4:5], v[48:49]
	v_fma_f64 v[48:49], -v[2:3], v[4:5], 1.0
	s_delay_alu instid0(VALU_DEP_1) | instskip(SKIP_1) | instid1(VALU_DEP_1)
	v_fmac_f64_e32 v[4:5], v[4:5], v[48:49]
	v_div_scale_f64 v[48:49], vcc_lo, v[58:59], v[62:63], v[58:59]
	v_mul_f64_e32 v[52:53], v[48:49], v[4:5]
	s_delay_alu instid0(VALU_DEP_1) | instskip(NEXT) | instid1(VALU_DEP_1)
	v_fma_f64 v[2:3], -v[2:3], v[52:53], v[48:49]
	v_div_fmas_f64 v[2:3], v[2:3], v[4:5], v[52:53]
	s_delay_alu instid0(VALU_DEP_1)
	v_div_fixup_f64 v[48:49], v[2:3], v[62:63], v[58:59]
.LBB23_178:                             ;   in Loop: Header=BB23_147 Depth=3
	s_or_b32 exec_lo, exec_lo, s5
	s_delay_alu instid0(VALU_DEP_1) | instskip(SKIP_1) | instid1(VALU_DEP_1)
	v_mul_f64_e32 v[2:3], v[50:51], v[48:49]
	s_mov_b32 s5, exec_lo
	v_cmpx_le_f64_e32 0, v[2:3]
	s_cbranch_execz .LBB23_180
; %bb.179:                              ;   in Loop: Header=BB23_147 Depth=3
	v_div_scale_f64 v[2:3], null, v[60:61], v[60:61], -v[50:51]
	s_delay_alu instid0(VALU_DEP_1) | instskip(SKIP_1) | instid1(TRANS32_DEP_1)
	v_rcp_f64_e32 v[4:5], v[2:3]
	v_nop
	v_fma_f64 v[48:49], -v[2:3], v[4:5], 1.0
	s_delay_alu instid0(VALU_DEP_1) | instskip(NEXT) | instid1(VALU_DEP_1)
	v_fmac_f64_e32 v[4:5], v[4:5], v[48:49]
	v_fma_f64 v[48:49], -v[2:3], v[4:5], 1.0
	s_delay_alu instid0(VALU_DEP_1) | instskip(SKIP_1) | instid1(VALU_DEP_1)
	v_fmac_f64_e32 v[4:5], v[4:5], v[48:49]
	v_div_scale_f64 v[48:49], vcc_lo, -v[50:51], v[60:61], -v[50:51]
	v_mul_f64_e32 v[52:53], v[48:49], v[4:5]
	s_delay_alu instid0(VALU_DEP_1) | instskip(NEXT) | instid1(VALU_DEP_1)
	v_fma_f64 v[2:3], -v[2:3], v[52:53], v[48:49]
	v_div_fmas_f64 v[2:3], v[2:3], v[4:5], v[52:53]
	s_delay_alu instid0(VALU_DEP_1)
	v_div_fixup_f64 v[48:49], v[2:3], v[60:61], -v[50:51]
.LBB23_180:                             ;   in Loop: Header=BB23_147 Depth=3
	s_or_b32 exec_lo, exec_lo, s5
	v_cmp_lt_f64_e32 vcc_lo, v[6:7], v[46:47]
	v_cmp_lt_f64_e64 s5, 0, v[50:51]
	v_cmp_lt_f64_e64 s6, v[46:47], v[8:9]
	v_dual_cndmask_b32 v4, v6, v46 :: v_dual_cndmask_b32 v5, v7, v47
	v_cmp_nge_f64_e32 vcc_lo, 0, v[50:51]
	s_and_b32 s5, s5, s6
	s_delay_alu instid0(SALU_CYCLE_1) | instskip(NEXT) | instid1(VALU_DEP_3)
	v_dual_add_f64 v[2:3], v[46:47], v[48:49] :: v_dual_cndmask_b32 v9, v9, v47, s5
	v_dual_cndmask_b32 v8, v8, v46, s5 :: v_dual_cndmask_b32 v7, v5, v7, vcc_lo
	v_cndmask_b32_e32 v6, v4, v6, vcc_lo
	s_delay_alu instid0(VALU_DEP_2) | instskip(NEXT) | instid1(VALU_DEP_2)
	v_cmp_gt_f64_e32 vcc_lo, v[2:3], v[8:9]
	v_cmp_lt_f64_e64 s5, v[2:3], v[6:7]
	s_or_b32 s6, vcc_lo, s5
	s_delay_alu instid0(SALU_CYCLE_1)
	s_and_saveexec_b32 s5, s6
	s_cbranch_execz .LBB23_186
; %bb.181:                              ;   in Loop: Header=BB23_147 Depth=3
	s_mov_b32 s6, exec_lo
                                        ; implicit-def: $vgpr48_vgpr49
	v_cmpx_ngt_f64_e32 0, v[50:51]
	s_xor_b32 s6, exec_lo, s6
	s_cbranch_execz .LBB23_183
; %bb.182:                              ;   in Loop: Header=BB23_147 Depth=3
	v_add_f64_e64 v[2:3], v[6:7], -v[46:47]
	s_delay_alu instid0(VALU_DEP_1)
	v_mul_f64_e32 v[48:49], 0.5, v[2:3]
.LBB23_183:                             ;   in Loop: Header=BB23_147 Depth=3
	s_and_not1_saveexec_b32 s6, s6
	s_cbranch_execz .LBB23_185
; %bb.184:                              ;   in Loop: Header=BB23_147 Depth=3
	v_add_f64_e64 v[2:3], v[8:9], -v[46:47]
	s_delay_alu instid0(VALU_DEP_1)
	v_mul_f64_e32 v[48:49], 0.5, v[2:3]
.LBB23_185:                             ;   in Loop: Header=BB23_147 Depth=3
	s_or_b32 exec_lo, exec_lo, s6
.LBB23_186:                             ;   in Loop: Header=BB23_147 Depth=3
	s_delay_alu instid0(SALU_CYCLE_1) | instskip(NEXT) | instid1(VALU_DEP_1)
	s_or_b32 exec_lo, exec_lo, s5
	v_add_f64_e64 v[54:55], v[54:55], -v[48:49]
	v_mov_b64_e32 v[52:53], 0
	v_mov_b64_e32 v[2:3], 0
	v_mov_b64_e32 v[4:5], 0
	global_store_b64 v[38:39], v[54:55], off
	s_wait_xcnt 0x0
	s_and_saveexec_b32 s5, s4
	s_cbranch_execz .LBB23_190
; %bb.187:                              ;   in Loop: Header=BB23_147 Depth=3
	v_mov_b64_e32 v[52:53], 0
	v_mov_b64_e32 v[2:3], 0
	;; [unrolled: 1-line block ×4, first 2 shown]
	v_mov_b32_e32 v23, v36
	s_mov_b32 s53, 0
	s_mov_b64 s[6:7], s[66:67]
.LBB23_188:                             ;   Parent Loop BB23_4 Depth=1
                                        ;     Parent Loop BB23_66 Depth=2
                                        ;       Parent Loop BB23_147 Depth=3
                                        ; =>      This Inner Loop Header: Depth=4
	global_load_b64 v[56:57], v[54:55], off
	s_wait_loadcnt 0x0
	v_dual_add_f64 v[56:57], v[56:57], -v[48:49] :: v_dual_add_nc_u32 v23, -1, v23
	global_store_b64 v[54:55], v[56:57], off
	global_load_b64 v[58:59], v11, s[6:7]
	s_wait_xcnt 0x1
	v_add_nc_u64_e32 v[54:55], 8, v[54:55]
	s_wait_xcnt 0x0
	s_add_nc_u64 s[6:7], s[6:7], 8
	s_wait_loadcnt 0x0
	v_div_scale_f64 v[60:61], null, v[56:57], v[56:57], v[58:59]
	v_div_scale_f64 v[70:71], vcc_lo, v[58:59], v[56:57], v[58:59]
	s_delay_alu instid0(VALU_DEP_2) | instskip(SKIP_1) | instid1(TRANS32_DEP_1)
	v_rcp_f64_e32 v[62:63], v[60:61]
	v_nop
	v_fma_f64 v[64:65], -v[60:61], v[62:63], 1.0
	s_delay_alu instid0(VALU_DEP_1) | instskip(NEXT) | instid1(VALU_DEP_1)
	v_fmac_f64_e32 v[62:63], v[62:63], v[64:65]
	v_fma_f64 v[64:65], -v[60:61], v[62:63], 1.0
	s_delay_alu instid0(VALU_DEP_1) | instskip(NEXT) | instid1(VALU_DEP_1)
	v_fmac_f64_e32 v[62:63], v[62:63], v[64:65]
	v_mul_f64_e32 v[64:65], v[70:71], v[62:63]
	s_delay_alu instid0(VALU_DEP_1) | instskip(NEXT) | instid1(VALU_DEP_1)
	v_fma_f64 v[60:61], -v[60:61], v[64:65], v[70:71]
	v_div_fmas_f64 v[60:61], v[60:61], v[62:63], v[64:65]
	v_cmp_eq_u32_e32 vcc_lo, 0, v23
	s_or_b32 s53, vcc_lo, s53
	s_delay_alu instid0(VALU_DEP_2) | instskip(NEXT) | instid1(VALU_DEP_1)
	v_div_fixup_f64 v[56:57], v[60:61], v[56:57], v[58:59]
	v_fmac_f64_e32 v[4:5], v[58:59], v[56:57]
	v_fmac_f64_e32 v[52:53], v[56:57], v[56:57]
	s_delay_alu instid0(VALU_DEP_2)
	v_add_f64_e32 v[2:3], v[2:3], v[4:5]
	s_and_not1_b32 exec_lo, exec_lo, s53
	s_cbranch_execnz .LBB23_188
; %bb.189:                              ;   in Loop: Header=BB23_147 Depth=3
	s_or_b32 exec_lo, exec_lo, s53
	s_delay_alu instid0(VALU_DEP_1)
	v_and_b32_e32 v3, 0x7fffffff, v3
.LBB23_190:                             ;   in Loop: Header=BB23_147 Depth=3
	s_or_b32 exec_lo, exec_lo, s5
	v_mov_b64_e32 v[56:57], 0
	v_mov_b64_e32 v[58:59], 0
	s_and_saveexec_b32 s5, s3
	s_cbranch_execz .LBB23_145
; %bb.191:                              ;   in Loop: Header=BB23_147 Depth=3
	v_mov_b64_e32 v[56:57], 0
	v_mov_b64_e32 v[58:59], 0
	;; [unrolled: 1-line block ×3, first 2 shown]
	s_mov_b32 s53, 0
	s_mov_b64 s[6:7], s[82:83]
	s_mov_b32 s91, s72
.LBB23_192:                             ;   Parent Loop BB23_4 Depth=1
                                        ;     Parent Loop BB23_66 Depth=2
                                        ;       Parent Loop BB23_147 Depth=3
                                        ; =>      This Inner Loop Header: Depth=4
	global_load_b64 v[60:61], v[54:55], off
	s_add_co_i32 s91, s91, -1
	s_wait_loadcnt 0x0
	v_add_f64_e64 v[60:61], v[60:61], -v[48:49]
	global_store_b64 v[54:55], v[60:61], off
	global_load_b64 v[62:63], v11, s[6:7]
	s_wait_xcnt 0x1
	v_add_nc_u64_e32 v[54:55], -8, v[54:55]
	s_wait_xcnt 0x0
	s_add_nc_u64 s[6:7], s[6:7], -8
	s_wait_loadcnt 0x0
	v_div_scale_f64 v[64:65], null, v[60:61], v[60:61], v[62:63]
	v_div_scale_f64 v[74:75], vcc_lo, v[62:63], v[60:61], v[62:63]
	s_delay_alu instid0(VALU_DEP_2) | instskip(SKIP_1) | instid1(TRANS32_DEP_1)
	v_rcp_f64_e32 v[70:71], v[64:65]
	v_nop
	v_fma_f64 v[72:73], -v[64:65], v[70:71], 1.0
	s_delay_alu instid0(VALU_DEP_1) | instskip(NEXT) | instid1(VALU_DEP_1)
	v_fmac_f64_e32 v[70:71], v[70:71], v[72:73]
	v_fma_f64 v[72:73], -v[64:65], v[70:71], 1.0
	s_delay_alu instid0(VALU_DEP_1) | instskip(NEXT) | instid1(VALU_DEP_1)
	v_fmac_f64_e32 v[70:71], v[70:71], v[72:73]
	v_mul_f64_e32 v[72:73], v[74:75], v[70:71]
	s_delay_alu instid0(VALU_DEP_1) | instskip(NEXT) | instid1(VALU_DEP_1)
	v_fma_f64 v[64:65], -v[64:65], v[72:73], v[74:75]
	v_div_fmas_f64 v[64:65], v[64:65], v[70:71], v[72:73]
	v_cmp_le_i32_e32 vcc_lo, s91, v36
	s_or_b32 s53, vcc_lo, s53
	s_delay_alu instid0(VALU_DEP_2) | instskip(NEXT) | instid1(VALU_DEP_1)
	v_div_fixup_f64 v[60:61], v[64:65], v[60:61], v[62:63]
	v_fmac_f64_e32 v[58:59], v[62:63], v[60:61]
	v_fmac_f64_e32 v[56:57], v[60:61], v[60:61]
	s_delay_alu instid0(VALU_DEP_2)
	v_add_f64_e32 v[2:3], v[2:3], v[58:59]
	s_and_not1_b32 exec_lo, exec_lo, s53
	s_cbranch_execnz .LBB23_192
; %bb.193:                              ;   in Loop: Header=BB23_147 Depth=3
	s_or_b32 exec_lo, exec_lo, s53
	s_branch .LBB23_145
.LBB23_194:                             ;   in Loop: Header=BB23_66 Depth=2
	s_or_b32 exec_lo, exec_lo, s22
	v_add_f64_e32 v[8:9], v[34:35], v[46:47]
.LBB23_195:                             ;   in Loop: Header=BB23_66 Depth=2
	s_or_b32 exec_lo, exec_lo, s94
                                        ; implicit-def: $vgpr26_vgpr27
                                        ; implicit-def: $vgpr46_vgpr47
	s_and_not1_saveexec_b32 s5, vcc_hi
	s_cbranch_execz .LBB23_75
.LBB23_196:                             ;   in Loop: Header=BB23_66 Depth=2
	v_lshl_add_u64 v[6:7], s[60:61], 3, v[46:47]
	v_mov_b64_e32 v[28:29], 0
	s_and_not1_b32 vcc_lo, exec_lo, s102
	global_load_b128 v[2:5], v[6:7], off offset:-16
	s_wait_loadcnt 0x0
	v_add_f64_e32 v[30:31], v[20:21], v[4:5]
	s_cbranch_vccnz .LBB23_199
; %bb.197:                              ;   in Loop: Header=BB23_66 Depth=2
	v_mov_b64_e32 v[28:29], 0
	v_mov_b64_e32 v[8:9], v[26:27]
	s_mov_b64 s[2:3], s[66:67]
	s_mov_b32 s4, s101
.LBB23_198:                             ;   Parent Loop BB23_4 Depth=1
                                        ;     Parent Loop BB23_66 Depth=2
                                        ; =>    This Inner Loop Header: Depth=3
	global_load_b64 v[32:33], v[8:9], off
	global_load_b64 v[34:35], v11, s[2:3]
	s_wait_xcnt 0x1
	v_add_nc_u64_e32 v[8:9], 8, v[8:9]
	s_add_co_i32 s4, s4, -1
	s_wait_xcnt 0x0
	s_add_nc_u64 s[2:3], s[2:3], 8
	s_cmp_lg_u32 s4, 0
	s_wait_loadcnt 0x1
	v_add_f64_e64 v[32:33], v[32:33], -v[30:31]
	s_wait_loadcnt 0x0
	s_delay_alu instid0(VALU_DEP_1) | instskip(SKIP_1) | instid1(VALU_DEP_2)
	v_div_scale_f64 v[36:37], null, v[32:33], v[32:33], v[34:35]
	v_div_scale_f64 v[42:43], vcc_lo, v[34:35], v[32:33], v[34:35]
	v_rcp_f64_e32 v[38:39], v[36:37]
	v_nop
	s_delay_alu instid0(TRANS32_DEP_1) | instskip(NEXT) | instid1(VALU_DEP_1)
	v_fma_f64 v[40:41], -v[36:37], v[38:39], 1.0
	v_fmac_f64_e32 v[38:39], v[38:39], v[40:41]
	s_delay_alu instid0(VALU_DEP_1) | instskip(NEXT) | instid1(VALU_DEP_1)
	v_fma_f64 v[40:41], -v[36:37], v[38:39], 1.0
	v_fmac_f64_e32 v[38:39], v[38:39], v[40:41]
	s_delay_alu instid0(VALU_DEP_1) | instskip(NEXT) | instid1(VALU_DEP_1)
	v_mul_f64_e32 v[40:41], v[42:43], v[38:39]
	v_fma_f64 v[36:37], -v[36:37], v[40:41], v[42:43]
	s_delay_alu instid0(VALU_DEP_1) | instskip(NEXT) | instid1(VALU_DEP_1)
	v_div_fmas_f64 v[36:37], v[36:37], v[38:39], v[40:41]
	v_div_fixup_f64 v[32:33], v[36:37], v[32:33], v[34:35]
	s_delay_alu instid0(VALU_DEP_1)
	v_fmac_f64_e32 v[28:29], v[34:35], v[32:33]
	s_cbranch_scc1 .LBB23_198
.LBB23_199:                             ;   in Loop: Header=BB23_66 Depth=2
	global_load_b128 v[34:37], v11, s[78:79] offset:-16
	v_add_f64_e64 v[30:31], v[2:3], -v[30:31]
	v_add_f64_e32 v[28:29], v[16:17], v[28:29]
	v_mov_b64_e32 v[8:9], v[4:5]
	s_wait_loadcnt 0x0
	v_mul_f64_e32 v[34:35], v[34:35], v[34:35]
	v_mul_f64_e32 v[36:37], v[36:37], v[36:37]
	s_delay_alu instid0(VALU_DEP_2) | instskip(SKIP_1) | instid1(VALU_DEP_2)
	v_div_scale_f64 v[32:33], null, v[30:31], v[30:31], v[34:35]
	v_div_scale_f64 v[42:43], vcc_lo, v[34:35], v[30:31], v[34:35]
	v_rcp_f64_e32 v[38:39], v[32:33]
	v_nop
	s_delay_alu instid0(TRANS32_DEP_1) | instskip(NEXT) | instid1(VALU_DEP_1)
	v_fma_f64 v[40:41], -v[32:33], v[38:39], 1.0
	v_fmac_f64_e32 v[38:39], v[38:39], v[40:41]
	s_delay_alu instid0(VALU_DEP_1) | instskip(NEXT) | instid1(VALU_DEP_1)
	v_fma_f64 v[40:41], -v[32:33], v[38:39], 1.0
	v_fmac_f64_e32 v[38:39], v[38:39], v[40:41]
	s_delay_alu instid0(VALU_DEP_1) | instskip(NEXT) | instid1(VALU_DEP_1)
	v_mul_f64_e32 v[40:41], v[42:43], v[38:39]
	v_fma_f64 v[32:33], -v[32:33], v[40:41], v[42:43]
	s_delay_alu instid0(VALU_DEP_1) | instskip(SKIP_2) | instid1(VALU_DEP_3)
	v_div_fmas_f64 v[38:39], v[32:33], v[38:39], v[40:41]
	v_add_f64_e32 v[32:33], 0, v[28:29]
	v_add_f64_e32 v[40:41], v[36:37], v[36:37]
	v_div_fixup_f64 v[30:31], v[38:39], v[30:31], v[34:35]
	s_delay_alu instid0(VALU_DEP_2) | instskip(NEXT) | instid1(VALU_DEP_2)
	v_mul_f64_e32 v[38:39], v[16:17], v[40:41]
	v_add_f64_e32 v[30:31], v[32:33], v[30:31]
	s_delay_alu instid0(VALU_DEP_1) | instskip(SKIP_3) | instid1(SALU_CYCLE_1)
	v_cmp_ngt_f64_e32 vcc_lo, v[30:31], v[38:39]
	v_add_f64_e64 v[38:39], v[4:5], -v[2:3]
                                        ; implicit-def: $vgpr2_vgpr3
	s_wait_xcnt 0x0
	s_and_saveexec_b32 s2, vcc_lo
	s_xor_b32 s3, exec_lo, s2
	s_cbranch_execz .LBB23_207
; %bb.200:                              ;   in Loop: Header=BB23_66 Depth=2
	s_delay_alu instid0(VALU_DEP_1) | instskip(SKIP_1) | instid1(VALU_DEP_2)
	v_add_f64_e32 v[2:3], v[14:15], v[38:39]
	v_div_scale_f64 v[40:41], null, v[14:15], v[14:15], v[36:37]
	v_div_scale_f64 v[30:31], null, v[2:3], v[2:3], v[34:35]
	s_delay_alu instid0(VALU_DEP_2) | instskip(SKIP_1) | instid1(VALU_DEP_2)
	v_rcp_f64_e32 v[44:45], v[40:41]
	v_div_scale_f64 v[50:51], vcc_lo, v[34:35], v[2:3], v[34:35]
	v_rcp_f64_e32 v[42:43], v[30:31]
	s_delay_alu instid0(TRANS32_DEP_2) | instskip(NEXT) | instid1(TRANS32_DEP_1)
	v_fma_f64 v[48:49], -v[40:41], v[44:45], 1.0
	v_fma_f64 v[46:47], -v[30:31], v[42:43], 1.0
	s_delay_alu instid0(VALU_DEP_2) | instskip(NEXT) | instid1(VALU_DEP_2)
	v_fmac_f64_e32 v[44:45], v[44:45], v[48:49]
	v_fmac_f64_e32 v[42:43], v[42:43], v[46:47]
	s_delay_alu instid0(VALU_DEP_2) | instskip(NEXT) | instid1(VALU_DEP_2)
	v_fma_f64 v[48:49], -v[40:41], v[44:45], 1.0
	v_fma_f64 v[46:47], -v[30:31], v[42:43], 1.0
	s_delay_alu instid0(VALU_DEP_2) | instskip(NEXT) | instid1(VALU_DEP_2)
	v_fmac_f64_e32 v[44:45], v[44:45], v[48:49]
	v_fmac_f64_e32 v[42:43], v[42:43], v[46:47]
	v_div_scale_f64 v[46:47], s2, v[36:37], v[14:15], v[36:37]
	s_delay_alu instid0(VALU_DEP_2) | instskip(NEXT) | instid1(VALU_DEP_2)
	v_mul_f64_e32 v[48:49], v[50:51], v[42:43]
	v_mul_f64_e32 v[52:53], v[46:47], v[44:45]
	s_delay_alu instid0(VALU_DEP_2) | instskip(NEXT) | instid1(VALU_DEP_2)
	v_fma_f64 v[30:31], -v[30:31], v[48:49], v[50:51]
	v_fma_f64 v[40:41], -v[40:41], v[52:53], v[46:47]
	s_delay_alu instid0(VALU_DEP_2) | instskip(SKIP_1) | instid1(VALU_DEP_2)
	v_div_fmas_f64 v[30:31], v[30:31], v[42:43], v[48:49]
	s_mov_b32 vcc_lo, s2
	v_div_fmas_f64 v[40:41], v[40:41], v[44:45], v[52:53]
	s_delay_alu instid0(VALU_DEP_2) | instskip(NEXT) | instid1(VALU_DEP_2)
	v_div_fixup_f64 v[2:3], v[30:31], v[2:3], v[34:35]
	v_div_fixup_f64 v[30:31], v[40:41], v[14:15], v[36:37]
	s_delay_alu instid0(VALU_DEP_1) | instskip(NEXT) | instid1(VALU_DEP_1)
	v_add_f64_e32 v[2:3], v[2:3], v[30:31]
	v_cmp_nle_f64_e32 vcc_lo, v[28:29], v[2:3]
	v_mov_b64_e32 v[2:3], v[14:15]
	s_and_saveexec_b32 s4, vcc_lo
	s_cbranch_execz .LBB23_206
; %bb.201:                              ;   in Loop: Header=BB23_66 Depth=2
	v_mul_f64_e32 v[28:29], v[38:39], v[36:37]
	v_fma_f64 v[2:3], -v[38:39], v[32:33], v[34:35]
	s_delay_alu instid0(VALU_DEP_2) | instskip(NEXT) | instid1(VALU_DEP_2)
	v_mul_f64_e32 v[34:35], 4.0, v[28:29]
	v_add_f64_e32 v[30:31], v[36:37], v[2:3]
	s_delay_alu instid0(VALU_DEP_2) | instskip(NEXT) | instid1(VALU_DEP_2)
	v_mul_f64_e32 v[2:3], v[32:33], v[34:35]
	v_cmp_ngt_f64_e64 s2, 0, v[30:31]
	s_delay_alu instid0(VALU_DEP_2) | instskip(NEXT) | instid1(VALU_DEP_1)
	v_fmac_f64_e32 v[2:3], v[30:31], v[30:31]
	v_cmp_gt_f64_e32 vcc_lo, 0x10000000, v[2:3]
	v_cndmask_b32_e64 v23, 0, 0x100, vcc_lo
	s_delay_alu instid0(VALU_DEP_1) | instskip(SKIP_1) | instid1(VALU_DEP_2)
	v_ldexp_f64 v[2:3], v[2:3], v23
	v_cndmask_b32_e64 v23, 0, 0xffffff80, vcc_lo
	v_rsq_f64_e32 v[34:35], v[2:3]
	v_cmp_class_f64_e64 vcc_lo, v[2:3], 0x260
	s_delay_alu instid0(TRANS32_DEP_1) | instskip(SKIP_1) | instid1(VALU_DEP_1)
	v_mul_f64_e32 v[36:37], v[2:3], v[34:35]
	v_mul_f64_e32 v[34:35], 0.5, v[34:35]
	v_fma_f64 v[38:39], -v[34:35], v[36:37], 0.5
	s_delay_alu instid0(VALU_DEP_1) | instskip(SKIP_1) | instid1(VALU_DEP_2)
	v_fmac_f64_e32 v[36:37], v[36:37], v[38:39]
	v_fmac_f64_e32 v[34:35], v[34:35], v[38:39]
	v_fma_f64 v[38:39], -v[36:37], v[36:37], v[2:3]
	s_delay_alu instid0(VALU_DEP_1) | instskip(NEXT) | instid1(VALU_DEP_1)
	v_fmac_f64_e32 v[36:37], v[38:39], v[34:35]
	v_fma_f64 v[38:39], -v[36:37], v[36:37], v[2:3]
	s_delay_alu instid0(VALU_DEP_1) | instskip(NEXT) | instid1(VALU_DEP_1)
	v_fmac_f64_e32 v[36:37], v[38:39], v[34:35]
	v_ldexp_f64 v[34:35], v[36:37], v23
	s_delay_alu instid0(VALU_DEP_1) | instskip(SKIP_1) | instid1(SALU_CYCLE_1)
	v_dual_cndmask_b32 v35, v35, v3 :: v_dual_cndmask_b32 v34, v34, v2
                                        ; implicit-def: $vgpr2_vgpr3
	s_and_saveexec_b32 s6, s2
	s_xor_b32 s2, exec_lo, s6
	s_cbranch_execz .LBB23_203
; %bb.202:                              ;   in Loop: Header=BB23_66 Depth=2
	s_delay_alu instid0(VALU_DEP_1) | instskip(SKIP_1) | instid1(VALU_DEP_1)
	v_add_f64_e32 v[2:3], v[30:31], v[34:35]
	v_add_f64_e32 v[28:29], v[32:33], v[32:33]
	v_div_scale_f64 v[30:31], null, v[28:29], v[28:29], v[2:3]
	s_delay_alu instid0(VALU_DEP_1) | instskip(SKIP_1) | instid1(TRANS32_DEP_1)
	v_rcp_f64_e32 v[32:33], v[30:31]
	v_nop
	v_fma_f64 v[34:35], -v[30:31], v[32:33], 1.0
	s_delay_alu instid0(VALU_DEP_1) | instskip(NEXT) | instid1(VALU_DEP_1)
	v_fmac_f64_e32 v[32:33], v[32:33], v[34:35]
	v_fma_f64 v[34:35], -v[30:31], v[32:33], 1.0
	s_delay_alu instid0(VALU_DEP_1) | instskip(SKIP_1) | instid1(VALU_DEP_1)
	v_fmac_f64_e32 v[32:33], v[32:33], v[34:35]
	v_div_scale_f64 v[34:35], vcc_lo, v[2:3], v[28:29], v[2:3]
	v_mul_f64_e32 v[36:37], v[34:35], v[32:33]
	s_delay_alu instid0(VALU_DEP_1) | instskip(NEXT) | instid1(VALU_DEP_1)
	v_fma_f64 v[30:31], -v[30:31], v[36:37], v[34:35]
                                        ; implicit-def: $vgpr34_vgpr35
	v_div_fmas_f64 v[30:31], v[30:31], v[32:33], v[36:37]
	s_delay_alu instid0(VALU_DEP_1)
	v_div_fixup_f64 v[2:3], v[30:31], v[28:29], v[2:3]
                                        ; implicit-def: $vgpr28_vgpr29
                                        ; implicit-def: $vgpr30_vgpr31
.LBB23_203:                             ;   in Loop: Header=BB23_66 Depth=2
	s_and_not1_saveexec_b32 s2, s2
	s_cbranch_execz .LBB23_205
; %bb.204:                              ;   in Loop: Header=BB23_66 Depth=2
	v_add_f64_e32 v[2:3], v[28:29], v[28:29]
	v_add_f64_e64 v[28:29], v[34:35], -v[30:31]
	s_delay_alu instid0(VALU_DEP_1) | instskip(NEXT) | instid1(VALU_DEP_1)
	v_div_scale_f64 v[30:31], null, v[28:29], v[28:29], v[2:3]
	v_rcp_f64_e32 v[32:33], v[30:31]
	v_nop
	s_delay_alu instid0(TRANS32_DEP_1) | instskip(NEXT) | instid1(VALU_DEP_1)
	v_fma_f64 v[34:35], -v[30:31], v[32:33], 1.0
	v_fmac_f64_e32 v[32:33], v[32:33], v[34:35]
	s_delay_alu instid0(VALU_DEP_1) | instskip(NEXT) | instid1(VALU_DEP_1)
	v_fma_f64 v[34:35], -v[30:31], v[32:33], 1.0
	v_fmac_f64_e32 v[32:33], v[32:33], v[34:35]
	v_div_scale_f64 v[34:35], vcc_lo, v[2:3], v[28:29], v[2:3]
	s_delay_alu instid0(VALU_DEP_1) | instskip(NEXT) | instid1(VALU_DEP_1)
	v_mul_f64_e32 v[36:37], v[34:35], v[32:33]
	v_fma_f64 v[30:31], -v[30:31], v[36:37], v[34:35]
	s_delay_alu instid0(VALU_DEP_1) | instskip(NEXT) | instid1(VALU_DEP_1)
	v_div_fmas_f64 v[30:31], v[30:31], v[32:33], v[36:37]
	v_div_fixup_f64 v[2:3], v[30:31], v[28:29], v[2:3]
.LBB23_205:                             ;   in Loop: Header=BB23_66 Depth=2
	s_or_b32 exec_lo, exec_lo, s2
.LBB23_206:                             ;   in Loop: Header=BB23_66 Depth=2
	s_delay_alu instid0(SALU_CYCLE_1)
	s_or_b32 exec_lo, exec_lo, s4
                                        ; implicit-def: $vgpr38_vgpr39
                                        ; implicit-def: $vgpr32_vgpr33
                                        ; implicit-def: $vgpr34_vgpr35
                                        ; implicit-def: $vgpr36_vgpr37
.LBB23_207:                             ;   in Loop: Header=BB23_66 Depth=2
	s_or_saveexec_b32 s3, s3
	v_mov_b64_e32 v[28:29], v[20:21]
	v_mov_b64_e32 v[30:31], v[14:15]
	s_xor_b32 exec_lo, exec_lo, s3
	s_cbranch_execz .LBB23_213
; %bb.208:                              ;   in Loop: Header=BB23_66 Depth=2
	s_delay_alu instid0(VALU_DEP_3) | instskip(SKIP_1) | instid1(VALU_DEP_2)
	v_mul_f64_e32 v[28:29], v[38:39], v[36:37]
	v_fma_f64 v[2:3], -v[38:39], v[32:33], v[34:35]
	v_mul_f64_e32 v[34:35], 4.0, v[28:29]
	s_delay_alu instid0(VALU_DEP_2) | instskip(NEXT) | instid1(VALU_DEP_2)
	v_add_f64_e32 v[30:31], v[36:37], v[2:3]
	v_mul_f64_e32 v[2:3], v[32:33], v[34:35]
	s_delay_alu instid0(VALU_DEP_2) | instskip(NEXT) | instid1(VALU_DEP_2)
	v_cmp_ngt_f64_e64 s2, 0, v[30:31]
	v_fmac_f64_e32 v[2:3], v[30:31], v[30:31]
	s_delay_alu instid0(VALU_DEP_1) | instskip(SKIP_1) | instid1(VALU_DEP_1)
	v_cmp_gt_f64_e32 vcc_lo, 0x10000000, v[2:3]
	v_cndmask_b32_e64 v23, 0, 0x100, vcc_lo
	v_ldexp_f64 v[2:3], v[2:3], v23
	v_cndmask_b32_e64 v23, 0, 0xffffff80, vcc_lo
	s_delay_alu instid0(VALU_DEP_2) | instskip(SKIP_1) | instid1(TRANS32_DEP_1)
	v_rsq_f64_e32 v[34:35], v[2:3]
	v_cmp_class_f64_e64 vcc_lo, v[2:3], 0x260
	v_mul_f64_e32 v[36:37], v[2:3], v[34:35]
	v_mul_f64_e32 v[34:35], 0.5, v[34:35]
	s_delay_alu instid0(VALU_DEP_1) | instskip(NEXT) | instid1(VALU_DEP_1)
	v_fma_f64 v[38:39], -v[34:35], v[36:37], 0.5
	v_fmac_f64_e32 v[36:37], v[36:37], v[38:39]
	v_fmac_f64_e32 v[34:35], v[34:35], v[38:39]
	s_delay_alu instid0(VALU_DEP_2) | instskip(NEXT) | instid1(VALU_DEP_1)
	v_fma_f64 v[38:39], -v[36:37], v[36:37], v[2:3]
	v_fmac_f64_e32 v[36:37], v[38:39], v[34:35]
	s_delay_alu instid0(VALU_DEP_1) | instskip(NEXT) | instid1(VALU_DEP_1)
	v_fma_f64 v[38:39], -v[36:37], v[36:37], v[2:3]
	v_fmac_f64_e32 v[36:37], v[38:39], v[34:35]
	s_delay_alu instid0(VALU_DEP_1) | instskip(NEXT) | instid1(VALU_DEP_1)
	v_ldexp_f64 v[34:35], v[36:37], v23
	v_dual_cndmask_b32 v35, v35, v3 :: v_dual_cndmask_b32 v34, v34, v2
                                        ; implicit-def: $vgpr2_vgpr3
	s_and_saveexec_b32 s4, s2
	s_delay_alu instid0(SALU_CYCLE_1)
	s_xor_b32 s2, exec_lo, s4
	s_cbranch_execz .LBB23_210
; %bb.209:                              ;   in Loop: Header=BB23_66 Depth=2
	s_delay_alu instid0(VALU_DEP_1) | instskip(SKIP_1) | instid1(VALU_DEP_1)
	v_add_f64_e32 v[2:3], v[30:31], v[34:35]
	v_add_f64_e32 v[28:29], v[32:33], v[32:33]
	v_div_scale_f64 v[30:31], null, v[28:29], v[28:29], v[2:3]
	s_delay_alu instid0(VALU_DEP_1) | instskip(SKIP_1) | instid1(TRANS32_DEP_1)
	v_rcp_f64_e32 v[32:33], v[30:31]
	v_nop
	v_fma_f64 v[34:35], -v[30:31], v[32:33], 1.0
	s_delay_alu instid0(VALU_DEP_1) | instskip(NEXT) | instid1(VALU_DEP_1)
	v_fmac_f64_e32 v[32:33], v[32:33], v[34:35]
	v_fma_f64 v[34:35], -v[30:31], v[32:33], 1.0
	s_delay_alu instid0(VALU_DEP_1) | instskip(SKIP_1) | instid1(VALU_DEP_1)
	v_fmac_f64_e32 v[32:33], v[32:33], v[34:35]
	v_div_scale_f64 v[34:35], vcc_lo, v[2:3], v[28:29], v[2:3]
	v_mul_f64_e32 v[36:37], v[34:35], v[32:33]
	s_delay_alu instid0(VALU_DEP_1) | instskip(NEXT) | instid1(VALU_DEP_1)
	v_fma_f64 v[30:31], -v[30:31], v[36:37], v[34:35]
                                        ; implicit-def: $vgpr34_vgpr35
	v_div_fmas_f64 v[30:31], v[30:31], v[32:33], v[36:37]
	s_delay_alu instid0(VALU_DEP_1)
	v_div_fixup_f64 v[2:3], v[30:31], v[28:29], v[2:3]
                                        ; implicit-def: $vgpr28_vgpr29
                                        ; implicit-def: $vgpr30_vgpr31
.LBB23_210:                             ;   in Loop: Header=BB23_66 Depth=2
	s_and_not1_saveexec_b32 s2, s2
	s_cbranch_execz .LBB23_212
; %bb.211:                              ;   in Loop: Header=BB23_66 Depth=2
	v_add_f64_e32 v[2:3], v[28:29], v[28:29]
	v_add_f64_e64 v[28:29], v[34:35], -v[30:31]
	s_delay_alu instid0(VALU_DEP_1) | instskip(NEXT) | instid1(VALU_DEP_1)
	v_div_scale_f64 v[30:31], null, v[28:29], v[28:29], v[2:3]
	v_rcp_f64_e32 v[32:33], v[30:31]
	v_nop
	s_delay_alu instid0(TRANS32_DEP_1) | instskip(NEXT) | instid1(VALU_DEP_1)
	v_fma_f64 v[34:35], -v[30:31], v[32:33], 1.0
	v_fmac_f64_e32 v[32:33], v[32:33], v[34:35]
	s_delay_alu instid0(VALU_DEP_1) | instskip(NEXT) | instid1(VALU_DEP_1)
	v_fma_f64 v[34:35], -v[30:31], v[32:33], 1.0
	v_fmac_f64_e32 v[32:33], v[32:33], v[34:35]
	v_div_scale_f64 v[34:35], vcc_lo, v[2:3], v[28:29], v[2:3]
	s_delay_alu instid0(VALU_DEP_1) | instskip(NEXT) | instid1(VALU_DEP_1)
	v_mul_f64_e32 v[36:37], v[34:35], v[32:33]
	v_fma_f64 v[30:31], -v[30:31], v[36:37], v[34:35]
	s_delay_alu instid0(VALU_DEP_1) | instskip(NEXT) | instid1(VALU_DEP_1)
	v_div_fmas_f64 v[30:31], v[30:31], v[32:33], v[36:37]
	v_div_fixup_f64 v[2:3], v[30:31], v[28:29], v[2:3]
.LBB23_212:                             ;   in Loop: Header=BB23_66 Depth=2
	s_or_b32 exec_lo, exec_lo, s2
	v_mov_b64_e32 v[28:29], 0
	v_mov_b64_e32 v[30:31], v[20:21]
.LBB23_213:                             ;   in Loop: Header=BB23_66 Depth=2
	s_or_b32 exec_lo, exec_lo, s3
	v_mov_b64_e32 v[32:33], v[26:27]
	s_and_not1_b32 vcc_lo, exec_lo, s103
	s_mov_b32 s2, s72
	s_cbranch_vccnz .LBB23_216
.LBB23_214:                             ;   Parent Loop BB23_4 Depth=1
                                        ;     Parent Loop BB23_66 Depth=2
                                        ; =>    This Inner Loop Header: Depth=3
	global_load_b64 v[8:9], v[32:33], off
	s_add_co_i32 s2, s2, -1
	s_delay_alu instid0(SALU_CYCLE_1)
	s_cmp_eq_u32 s2, 0
	s_wait_loadcnt 0x0
	v_add_f64_e64 v[8:9], v[8:9], -v[4:5]
	global_store_b64 v[32:33], v[8:9], off
	s_wait_xcnt 0x0
	v_add_nc_u64_e32 v[32:33], 8, v[32:33]
	s_cbranch_scc0 .LBB23_214
; %bb.215:                              ;   in Loop: Header=BB23_66 Depth=2
	global_load_b64 v[8:9], v[6:7], off offset:-8
.LBB23_216:                             ;   in Loop: Header=BB23_66 Depth=2
	s_wait_loadcnt 0x0
	v_add_f64_e64 v[34:35], v[8:9], -v[4:5]
	v_mov_b64_e32 v[8:9], 0
	v_mov_b64_e32 v[32:33], 0
	;; [unrolled: 1-line block ×3, first 2 shown]
	s_and_not1_b32 vcc_lo, exec_lo, s103
	global_store_b64 v[6:7], v[34:35], off offset:-8
	s_cbranch_vccnz .LBB23_220
; %bb.217:                              ;   in Loop: Header=BB23_66 Depth=2
	v_mov_b64_e32 v[8:9], 0
	v_mov_b64_e32 v[32:33], 0
	;; [unrolled: 1-line block ×3, first 2 shown]
	s_wait_xcnt 0x0
	v_mov_b64_e32 v[34:35], v[26:27]
	s_mov_b64 s[2:3], s[66:67]
	s_mov_b32 s4, s72
.LBB23_218:                             ;   Parent Loop BB23_4 Depth=1
                                        ;     Parent Loop BB23_66 Depth=2
                                        ; =>    This Inner Loop Header: Depth=3
	global_load_b64 v[38:39], v[34:35], off
	s_add_co_i32 s4, s4, -1
	s_delay_alu instid0(SALU_CYCLE_1)
	s_cmp_eq_u32 s4, 0
	s_wait_loadcnt 0x0
	v_add_f64_e64 v[38:39], v[38:39], -v[2:3]
	global_store_b64 v[34:35], v[38:39], off
	global_load_b64 v[40:41], v11, s[2:3]
	s_wait_xcnt 0x1
	v_add_nc_u64_e32 v[34:35], 8, v[34:35]
	s_wait_xcnt 0x0
	s_add_nc_u64 s[2:3], s[2:3], 8
	s_wait_loadcnt 0x0
	v_div_scale_f64 v[42:43], null, v[38:39], v[38:39], v[40:41]
	v_div_scale_f64 v[48:49], vcc_lo, v[40:41], v[38:39], v[40:41]
	s_delay_alu instid0(VALU_DEP_2) | instskip(SKIP_1) | instid1(TRANS32_DEP_1)
	v_rcp_f64_e32 v[44:45], v[42:43]
	v_nop
	v_fma_f64 v[46:47], -v[42:43], v[44:45], 1.0
	s_delay_alu instid0(VALU_DEP_1) | instskip(NEXT) | instid1(VALU_DEP_1)
	v_fmac_f64_e32 v[44:45], v[44:45], v[46:47]
	v_fma_f64 v[46:47], -v[42:43], v[44:45], 1.0
	s_delay_alu instid0(VALU_DEP_1) | instskip(NEXT) | instid1(VALU_DEP_1)
	v_fmac_f64_e32 v[44:45], v[44:45], v[46:47]
	v_mul_f64_e32 v[46:47], v[48:49], v[44:45]
	s_delay_alu instid0(VALU_DEP_1) | instskip(NEXT) | instid1(VALU_DEP_1)
	v_fma_f64 v[42:43], -v[42:43], v[46:47], v[48:49]
	v_div_fmas_f64 v[42:43], v[42:43], v[44:45], v[46:47]
	s_delay_alu instid0(VALU_DEP_1) | instskip(NEXT) | instid1(VALU_DEP_1)
	v_div_fixup_f64 v[38:39], v[42:43], v[38:39], v[40:41]
	v_fmac_f64_e32 v[36:37], v[40:41], v[38:39]
	v_fmac_f64_e32 v[8:9], v[38:39], v[38:39]
	s_delay_alu instid0(VALU_DEP_2)
	v_add_f64_e32 v[32:33], v[32:33], v[36:37]
	s_cbranch_scc0 .LBB23_218
; %bb.219:                              ;   in Loop: Header=BB23_66 Depth=2
	global_load_b64 v[34:35], v[6:7], off offset:-8
	v_and_b32_e32 v33, 0x7fffffff, v33
.LBB23_220:                             ;   in Loop: Header=BB23_66 Depth=2
	s_wait_loadcnt 0x0
	v_add_f64_e64 v[34:35], v[34:35], -v[2:3]
	s_mov_b32 s6, exec_lo
	global_store_b64 v[6:7], v[34:35], off offset:-8
	global_load_b64 v[38:39], v11, s[78:79] offset:-8
	s_wait_loadcnt 0x0
	v_div_scale_f64 v[40:41], null, v[34:35], v[34:35], v[38:39]
	s_delay_alu instid0(VALU_DEP_1) | instskip(SKIP_1) | instid1(TRANS32_DEP_1)
	v_rcp_f64_e32 v[42:43], v[40:41]
	v_nop
	v_fma_f64 v[44:45], -v[40:41], v[42:43], 1.0
	s_delay_alu instid0(VALU_DEP_1) | instskip(NEXT) | instid1(VALU_DEP_1)
	v_fmac_f64_e32 v[42:43], v[42:43], v[44:45]
	v_fma_f64 v[44:45], -v[40:41], v[42:43], 1.0
	s_delay_alu instid0(VALU_DEP_1) | instskip(SKIP_1) | instid1(VALU_DEP_1)
	v_fmac_f64_e32 v[42:43], v[42:43], v[44:45]
	v_div_scale_f64 v[44:45], vcc_lo, v[38:39], v[34:35], v[38:39]
	v_mul_f64_e32 v[46:47], v[44:45], v[42:43]
	s_delay_alu instid0(VALU_DEP_1) | instskip(NEXT) | instid1(VALU_DEP_1)
	v_fma_f64 v[40:41], -v[40:41], v[46:47], v[44:45]
	v_div_fmas_f64 v[40:41], v[40:41], v[42:43], v[46:47]
	s_delay_alu instid0(VALU_DEP_1) | instskip(NEXT) | instid1(VALU_DEP_1)
	v_div_fixup_f64 v[40:41], v[40:41], v[34:35], v[38:39]
	v_fma_f64 v[42:43], v[38:39], v[40:41], 0
	v_fma_f64 v[38:39], v[40:41], v[40:41], v[8:9]
	s_delay_alu instid0(VALU_DEP_2) | instskip(SKIP_2) | instid1(VALU_DEP_3)
	v_add_f64_e32 v[44:45], v[36:37], v[42:43]
	v_add_f64_e32 v[32:33], v[32:33], v[42:43]
	v_add_f64_e32 v[36:37], v[16:17], v[36:37]
	v_ldexp_f64 v[44:45], -v[44:45], 3
	s_delay_alu instid0(VALU_DEP_1) | instskip(NEXT) | instid1(VALU_DEP_1)
	v_fma_f64 v[44:45], |v[2:3]|, v[38:39], v[44:45]
	v_add_f64_e64 v[44:45], v[44:45], -v[42:43]
	s_delay_alu instid0(VALU_DEP_1) | instskip(NEXT) | instid1(VALU_DEP_1)
	v_add_f64_e32 v[44:45], v[16:17], v[44:45]
	v_add_f64_e32 v[44:45], v[32:33], v[44:45]
	;; [unrolled: 1-line block ×3, first 2 shown]
	s_delay_alu instid0(VALU_DEP_2) | instskip(SKIP_1) | instid1(VALU_DEP_1)
	v_mul_f64_e32 v[36:37], s[18:19], v[44:45]
	s_wait_xcnt 0x0
	v_cmpx_nle_f64_e64 |v[32:33]|, v[36:37]
	s_cbranch_execz .LBB23_262
; %bb.221:                              ;   in Loop: Header=BB23_66 Depth=2
	global_load_b64 v[42:43], v[6:7], off offset:-16
	v_mul_f64_e32 v[36:37], v[40:41], v[40:41]
	v_cmp_lt_f64_e64 s2, 0, v[32:33]
	v_cmp_lt_f64_e64 s3, v[2:3], v[30:31]
	s_mov_b32 s4, exec_lo
	s_wait_loadcnt 0x0
	v_fma_f64 v[8:9], -v[8:9], v[42:43], v[32:33]
	s_delay_alu instid0(VALU_DEP_1) | instskip(SKIP_1) | instid1(VALU_DEP_1)
	v_fma_f64 v[8:9], -v[34:35], v[36:37], v[8:9]
                                        ; implicit-def: $vgpr36_vgpr37
	s_wait_xcnt 0x0
	v_cmpx_neq_f64_e32 0, v[8:9]
	s_xor_b32 s7, exec_lo, s4
	s_cbranch_execz .LBB23_227
; %bb.222:                              ;   in Loop: Header=BB23_66 Depth=2
	v_mul_f64_e32 v[36:37], v[34:35], v[42:43]
	v_add_f64_e32 v[42:43], v[34:35], v[42:43]
	s_delay_alu instid0(VALU_DEP_2) | instskip(SKIP_1) | instid1(VALU_DEP_2)
	v_mul_f64_e32 v[40:41], v[32:33], v[36:37]
	v_mul_f64_e32 v[36:37], v[38:39], v[36:37]
	v_mul_f64_e32 v[44:45], -4.0, v[40:41]
	s_delay_alu instid0(VALU_DEP_2) | instskip(NEXT) | instid1(VALU_DEP_2)
	v_fma_f64 v[42:43], v[32:33], v[42:43], -v[36:37]
	v_mul_f64_e64 v[36:37], v[44:45], |v[8:9]|
	s_delay_alu instid0(VALU_DEP_1) | instskip(NEXT) | instid1(VALU_DEP_1)
	v_fmac_f64_e32 v[36:37], v[42:43], v[42:43]
	v_cmp_gt_f64_e64 s4, 0x10000000, |v[36:37]|
	s_delay_alu instid0(VALU_DEP_1) | instskip(NEXT) | instid1(VALU_DEP_1)
	v_cndmask_b32_e64 v23, 0, 0x100, s4
	v_ldexp_f64 v[36:37], |v[36:37]|, v23
	v_cndmask_b32_e64 v23, 0, 0xffffff80, s4
	v_cmp_le_f64_e64 s4, 0, v[42:43]
	s_delay_alu instid0(VALU_DEP_3) | instskip(SKIP_1) | instid1(TRANS32_DEP_1)
	v_rsq_f64_e32 v[44:45], v[36:37]
	v_cmp_class_f64_e64 vcc_lo, v[36:37], 0x260
	v_mul_f64_e32 v[46:47], v[36:37], v[44:45]
	v_mul_f64_e32 v[44:45], 0.5, v[44:45]
	s_delay_alu instid0(VALU_DEP_1) | instskip(NEXT) | instid1(VALU_DEP_1)
	v_fma_f64 v[48:49], -v[44:45], v[46:47], 0.5
	v_fmac_f64_e32 v[46:47], v[46:47], v[48:49]
	v_fmac_f64_e32 v[44:45], v[44:45], v[48:49]
	s_delay_alu instid0(VALU_DEP_2) | instskip(NEXT) | instid1(VALU_DEP_1)
	v_fma_f64 v[48:49], -v[46:47], v[46:47], v[36:37]
	v_fmac_f64_e32 v[46:47], v[48:49], v[44:45]
	s_delay_alu instid0(VALU_DEP_1) | instskip(NEXT) | instid1(VALU_DEP_1)
	v_fma_f64 v[48:49], -v[46:47], v[46:47], v[36:37]
	v_fmac_f64_e32 v[46:47], v[48:49], v[44:45]
	s_delay_alu instid0(VALU_DEP_1) | instskip(NEXT) | instid1(VALU_DEP_1)
	v_ldexp_f64 v[44:45], v[46:47], v23
	v_dual_cndmask_b32 v45, v45, v37 :: v_dual_cndmask_b32 v44, v44, v36
                                        ; implicit-def: $vgpr36_vgpr37
	s_and_saveexec_b32 s22, s4
	s_delay_alu instid0(SALU_CYCLE_1)
	s_xor_b32 s4, exec_lo, s22
	s_cbranch_execz .LBB23_224
; %bb.223:                              ;   in Loop: Header=BB23_66 Depth=2
	s_delay_alu instid0(VALU_DEP_1) | instskip(SKIP_1) | instid1(VALU_DEP_1)
	v_add_f64_e32 v[36:37], v[42:43], v[44:45]
	v_add_f64_e64 v[8:9], |v[8:9]|, |v[8:9]|
	v_div_scale_f64 v[40:41], null, v[8:9], v[8:9], v[36:37]
	s_delay_alu instid0(VALU_DEP_1) | instskip(SKIP_1) | instid1(TRANS32_DEP_1)
	v_rcp_f64_e32 v[42:43], v[40:41]
	v_nop
	v_fma_f64 v[44:45], -v[40:41], v[42:43], 1.0
	s_delay_alu instid0(VALU_DEP_1) | instskip(NEXT) | instid1(VALU_DEP_1)
	v_fmac_f64_e32 v[42:43], v[42:43], v[44:45]
	v_fma_f64 v[44:45], -v[40:41], v[42:43], 1.0
	s_delay_alu instid0(VALU_DEP_1) | instskip(SKIP_1) | instid1(VALU_DEP_1)
	v_fmac_f64_e32 v[42:43], v[42:43], v[44:45]
	v_div_scale_f64 v[44:45], vcc_lo, v[36:37], v[8:9], v[36:37]
	v_mul_f64_e32 v[46:47], v[44:45], v[42:43]
	s_delay_alu instid0(VALU_DEP_1) | instskip(NEXT) | instid1(VALU_DEP_1)
	v_fma_f64 v[40:41], -v[40:41], v[46:47], v[44:45]
                                        ; implicit-def: $vgpr44_vgpr45
	v_div_fmas_f64 v[40:41], v[40:41], v[42:43], v[46:47]
                                        ; implicit-def: $vgpr42_vgpr43
	s_delay_alu instid0(VALU_DEP_1)
	v_div_fixup_f64 v[36:37], v[40:41], v[8:9], v[36:37]
                                        ; implicit-def: $vgpr40_vgpr41
.LBB23_224:                             ;   in Loop: Header=BB23_66 Depth=2
	s_and_not1_saveexec_b32 s4, s4
	s_cbranch_execz .LBB23_226
; %bb.225:                              ;   in Loop: Header=BB23_66 Depth=2
	v_add_f64_e32 v[8:9], v[40:41], v[40:41]
	v_add_f64_e64 v[36:37], v[42:43], -v[44:45]
	s_delay_alu instid0(VALU_DEP_1) | instskip(NEXT) | instid1(VALU_DEP_1)
	v_div_scale_f64 v[40:41], null, v[36:37], v[36:37], v[8:9]
	v_rcp_f64_e32 v[42:43], v[40:41]
	v_nop
	s_delay_alu instid0(TRANS32_DEP_1) | instskip(NEXT) | instid1(VALU_DEP_1)
	v_fma_f64 v[44:45], -v[40:41], v[42:43], 1.0
	v_fmac_f64_e32 v[42:43], v[42:43], v[44:45]
	s_delay_alu instid0(VALU_DEP_1) | instskip(NEXT) | instid1(VALU_DEP_1)
	v_fma_f64 v[44:45], -v[40:41], v[42:43], 1.0
	v_fmac_f64_e32 v[42:43], v[42:43], v[44:45]
	v_div_scale_f64 v[44:45], vcc_lo, v[8:9], v[36:37], v[8:9]
	s_delay_alu instid0(VALU_DEP_1) | instskip(NEXT) | instid1(VALU_DEP_1)
	v_mul_f64_e32 v[46:47], v[44:45], v[42:43]
	v_fma_f64 v[40:41], -v[40:41], v[46:47], v[44:45]
	s_delay_alu instid0(VALU_DEP_1) | instskip(NEXT) | instid1(VALU_DEP_1)
	v_div_fmas_f64 v[40:41], v[40:41], v[42:43], v[46:47]
	v_div_fixup_f64 v[36:37], v[40:41], v[36:37], v[8:9]
.LBB23_226:                             ;   in Loop: Header=BB23_66 Depth=2
	s_or_b32 exec_lo, exec_lo, s4
.LBB23_227:                             ;   in Loop: Header=BB23_66 Depth=2
	s_or_saveexec_b32 s4, s7
	s_and_b32 vcc_lo, s3, s2
	v_dual_cndmask_b32 v9, v31, v3 :: v_dual_cndmask_b32 v8, v30, v2
	s_xor_b32 exec_lo, exec_lo, s4
; %bb.228:                              ;   in Loop: Header=BB23_66 Depth=2
	s_delay_alu instid0(VALU_DEP_1)
	v_add_f64_e64 v[36:37], v[8:9], -v[2:3]
; %bb.229:                              ;   in Loop: Header=BB23_66 Depth=2
	s_or_b32 exec_lo, exec_lo, s4
	s_delay_alu instid0(VALU_DEP_1) | instskip(SKIP_1) | instid1(VALU_DEP_1)
	v_mul_f64_e32 v[30:31], v[32:33], v[36:37]
	s_mov_b32 s2, exec_lo
	v_cmpx_lt_f64_e32 0, v[30:31]
	s_cbranch_execz .LBB23_231
; %bb.230:                              ;   in Loop: Header=BB23_66 Depth=2
	v_div_scale_f64 v[30:31], null, v[38:39], v[38:39], -v[32:33]
	s_delay_alu instid0(VALU_DEP_1) | instskip(SKIP_1) | instid1(TRANS32_DEP_1)
	v_rcp_f64_e32 v[36:37], v[30:31]
	v_nop
	v_fma_f64 v[40:41], -v[30:31], v[36:37], 1.0
	s_delay_alu instid0(VALU_DEP_1) | instskip(NEXT) | instid1(VALU_DEP_1)
	v_fmac_f64_e32 v[36:37], v[36:37], v[40:41]
	v_fma_f64 v[40:41], -v[30:31], v[36:37], 1.0
	s_delay_alu instid0(VALU_DEP_1) | instskip(SKIP_1) | instid1(VALU_DEP_1)
	v_fmac_f64_e32 v[36:37], v[36:37], v[40:41]
	v_div_scale_f64 v[40:41], vcc_lo, -v[32:33], v[38:39], -v[32:33]
	v_mul_f64_e32 v[42:43], v[40:41], v[36:37]
	s_delay_alu instid0(VALU_DEP_1) | instskip(NEXT) | instid1(VALU_DEP_1)
	v_fma_f64 v[30:31], -v[30:31], v[42:43], v[40:41]
	v_div_fmas_f64 v[30:31], v[30:31], v[36:37], v[42:43]
	s_delay_alu instid0(VALU_DEP_1)
	v_div_fixup_f64 v[36:37], v[30:31], v[38:39], -v[32:33]
.LBB23_231:                             ;   in Loop: Header=BB23_66 Depth=2
	s_or_b32 exec_lo, exec_lo, s2
	v_cmp_lt_f64_e32 vcc_lo, v[28:29], v[2:3]
	s_delay_alu instid0(VALU_DEP_2) | instskip(SKIP_2) | instid1(VALU_DEP_2)
	v_dual_add_f64 v[30:31], v[2:3], v[36:37] :: v_dual_cndmask_b32 v23, v28, v2, vcc_lo
	v_cndmask_b32_e32 v38, v29, v3, vcc_lo
	v_cmp_nge_f64_e32 vcc_lo, 0, v[32:33]
	v_dual_cndmask_b32 v29, v38, v29 :: v_dual_cndmask_b32 v28, v23, v28
	s_delay_alu instid0(VALU_DEP_4) | instskip(NEXT) | instid1(VALU_DEP_2)
	v_cmp_gt_f64_e32 vcc_lo, v[30:31], v[8:9]
	v_cmp_lt_f64_e64 s2, v[30:31], v[28:29]
	s_or_b32 s3, vcc_lo, s2
	s_delay_alu instid0(SALU_CYCLE_1)
	s_and_saveexec_b32 s2, s3
	s_cbranch_execz .LBB23_237
; %bb.232:                              ;   in Loop: Header=BB23_66 Depth=2
	s_mov_b32 s3, exec_lo
                                        ; implicit-def: $vgpr36_vgpr37
	v_cmpx_ngt_f64_e32 0, v[32:33]
	s_xor_b32 s3, exec_lo, s3
	s_cbranch_execz .LBB23_234
; %bb.233:                              ;   in Loop: Header=BB23_66 Depth=2
	v_add_f64_e64 v[30:31], v[28:29], -v[2:3]
	s_delay_alu instid0(VALU_DEP_1)
	v_mul_f64_e32 v[36:37], 0.5, v[30:31]
.LBB23_234:                             ;   in Loop: Header=BB23_66 Depth=2
	s_and_not1_saveexec_b32 s3, s3
	s_cbranch_execz .LBB23_236
; %bb.235:                              ;   in Loop: Header=BB23_66 Depth=2
	v_add_f64_e64 v[30:31], v[8:9], -v[2:3]
	s_delay_alu instid0(VALU_DEP_1)
	v_mul_f64_e32 v[36:37], 0.5, v[30:31]
.LBB23_236:                             ;   in Loop: Header=BB23_66 Depth=2
	s_or_b32 exec_lo, exec_lo, s3
.LBB23_237:                             ;   in Loop: Header=BB23_66 Depth=2
	s_delay_alu instid0(SALU_CYCLE_1)
	s_or_b32 exec_lo, exec_lo, s2
	v_mov_b64_e32 v[32:33], 0
	v_mov_b64_e32 v[38:39], 0
	;; [unrolled: 1-line block ×3, first 2 shown]
	s_and_not1_b32 vcc_lo, exec_lo, s103
	s_cbranch_vccnz .LBB23_241
; %bb.238:                              ;   in Loop: Header=BB23_66 Depth=2
	v_mov_b64_e32 v[32:33], 0
	v_mov_b64_e32 v[38:39], 0
	;; [unrolled: 1-line block ×4, first 2 shown]
	s_mov_b64 s[2:3], s[66:67]
	s_mov_b32 s4, s72
.LBB23_239:                             ;   Parent Loop BB23_4 Depth=1
                                        ;     Parent Loop BB23_66 Depth=2
                                        ; =>    This Inner Loop Header: Depth=3
	global_load_b64 v[34:35], v[30:31], off
	s_add_co_i32 s4, s4, -1
	s_delay_alu instid0(SALU_CYCLE_1)
	s_cmp_eq_u32 s4, 0
	s_wait_loadcnt 0x0
	v_add_f64_e64 v[34:35], v[34:35], -v[36:37]
	global_store_b64 v[30:31], v[34:35], off
	global_load_b64 v[42:43], v11, s[2:3]
	s_wait_xcnt 0x1
	v_add_nc_u64_e32 v[30:31], 8, v[30:31]
	s_wait_xcnt 0x0
	s_add_nc_u64 s[2:3], s[2:3], 8
	s_wait_loadcnt 0x0
	v_div_scale_f64 v[44:45], null, v[34:35], v[34:35], v[42:43]
	v_div_scale_f64 v[50:51], vcc_lo, v[42:43], v[34:35], v[42:43]
	s_delay_alu instid0(VALU_DEP_2) | instskip(SKIP_1) | instid1(TRANS32_DEP_1)
	v_rcp_f64_e32 v[46:47], v[44:45]
	v_nop
	v_fma_f64 v[48:49], -v[44:45], v[46:47], 1.0
	s_delay_alu instid0(VALU_DEP_1) | instskip(NEXT) | instid1(VALU_DEP_1)
	v_fmac_f64_e32 v[46:47], v[46:47], v[48:49]
	v_fma_f64 v[48:49], -v[44:45], v[46:47], 1.0
	s_delay_alu instid0(VALU_DEP_1) | instskip(NEXT) | instid1(VALU_DEP_1)
	v_fmac_f64_e32 v[46:47], v[46:47], v[48:49]
	v_mul_f64_e32 v[48:49], v[50:51], v[46:47]
	s_delay_alu instid0(VALU_DEP_1) | instskip(NEXT) | instid1(VALU_DEP_1)
	v_fma_f64 v[44:45], -v[44:45], v[48:49], v[50:51]
	v_div_fmas_f64 v[44:45], v[44:45], v[46:47], v[48:49]
	s_delay_alu instid0(VALU_DEP_1) | instskip(NEXT) | instid1(VALU_DEP_1)
	v_div_fixup_f64 v[34:35], v[44:45], v[34:35], v[42:43]
	v_fmac_f64_e32 v[40:41], v[42:43], v[34:35]
	v_fmac_f64_e32 v[32:33], v[34:35], v[34:35]
	s_delay_alu instid0(VALU_DEP_2)
	v_add_f64_e32 v[38:39], v[38:39], v[40:41]
	s_cbranch_scc0 .LBB23_239
; %bb.240:                              ;   in Loop: Header=BB23_66 Depth=2
	global_load_b64 v[34:35], v[6:7], off offset:-8
	v_and_b32_e32 v39, 0x7fffffff, v39
.LBB23_241:                             ;   in Loop: Header=BB23_66 Depth=2
	s_wait_loadcnt 0x0
	s_delay_alu instid0(VALU_DEP_4)
	v_add_f64_e64 v[30:31], v[34:35], -v[36:37]
	v_add_f64_e32 v[2:3], v[2:3], v[36:37]
	s_mov_b32 s4, exec_lo
	global_store_b64 v[6:7], v[30:31], off offset:-8
	global_load_b64 v[34:35], v11, s[78:79] offset:-8
	s_wait_loadcnt 0x0
	v_div_scale_f64 v[42:43], null, v[30:31], v[30:31], v[34:35]
	s_delay_alu instid0(VALU_DEP_1) | instskip(SKIP_1) | instid1(TRANS32_DEP_1)
	v_rcp_f64_e32 v[44:45], v[42:43]
	v_nop
	v_fma_f64 v[46:47], -v[42:43], v[44:45], 1.0
	s_delay_alu instid0(VALU_DEP_1) | instskip(NEXT) | instid1(VALU_DEP_1)
	v_fmac_f64_e32 v[44:45], v[44:45], v[46:47]
	v_fma_f64 v[46:47], -v[42:43], v[44:45], 1.0
	s_delay_alu instid0(VALU_DEP_1) | instskip(SKIP_1) | instid1(VALU_DEP_1)
	v_fmac_f64_e32 v[44:45], v[44:45], v[46:47]
	v_div_scale_f64 v[46:47], vcc_lo, v[34:35], v[30:31], v[34:35]
	v_mul_f64_e32 v[48:49], v[46:47], v[44:45]
	s_delay_alu instid0(VALU_DEP_1) | instskip(NEXT) | instid1(VALU_DEP_1)
	v_fma_f64 v[42:43], -v[42:43], v[48:49], v[46:47]
	v_div_fmas_f64 v[42:43], v[42:43], v[44:45], v[48:49]
	s_delay_alu instid0(VALU_DEP_1) | instskip(NEXT) | instid1(VALU_DEP_1)
	v_div_fixup_f64 v[42:43], v[42:43], v[30:31], v[34:35]
	v_fma_f64 v[34:35], v[34:35], v[42:43], 0
	v_fma_f64 v[36:37], v[42:43], v[42:43], v[32:33]
	s_delay_alu instid0(VALU_DEP_2) | instskip(SKIP_2) | instid1(VALU_DEP_3)
	v_add_f64_e32 v[44:45], v[40:41], v[34:35]
	v_add_f64_e32 v[38:39], v[38:39], v[34:35]
	;; [unrolled: 1-line block ×3, first 2 shown]
	v_ldexp_f64 v[44:45], -v[44:45], 3
	s_delay_alu instid0(VALU_DEP_1) | instskip(NEXT) | instid1(VALU_DEP_1)
	v_fma_f64 v[36:37], |v[2:3]|, v[36:37], v[44:45]
	v_add_f64_e64 v[36:37], v[36:37], -v[34:35]
	s_delay_alu instid0(VALU_DEP_4) | instskip(NEXT) | instid1(VALU_DEP_2)
	v_add_f64_e32 v[34:35], v[40:41], v[34:35]
	v_add_f64_e32 v[36:37], v[16:17], v[36:37]
	s_delay_alu instid0(VALU_DEP_1) | instskip(NEXT) | instid1(VALU_DEP_1)
	v_add_f64_e32 v[36:37], v[38:39], v[36:37]
	v_mul_f64_e32 v[36:37], s[18:19], v[36:37]
	s_wait_xcnt 0x0
	s_delay_alu instid0(VALU_DEP_1)
	v_cmpx_nle_f64_e64 |v[34:35]|, v[36:37]
	s_cbranch_execz .LBB23_261
; %bb.242:                              ;   in Loop: Header=BB23_66 Depth=2
	v_mul_f64_e32 v[36:37], v[42:43], v[42:43]
	s_mov_b32 s22, 1
	s_mov_b32 s7, 0
	s_branch .LBB23_244
.LBB23_243:                             ;   in Loop: Header=BB23_244 Depth=3
	s_wait_loadcnt 0x0
	s_delay_alu instid0(VALU_DEP_4)
	v_add_f64_e64 v[30:31], v[30:31], -v[36:37]
	v_add_f64_e32 v[2:3], v[2:3], v[36:37]
	s_add_co_i32 s3, s22, 1
	s_cmp_gt_u32 s22, 48
	s_cselect_b32 s22, -1, 0
	global_store_b64 v[6:7], v[30:31], off offset:-8
	global_load_b64 v[40:41], v11, s[78:79] offset:-8
	s_wait_loadcnt 0x0
	v_div_scale_f64 v[42:43], null, v[30:31], v[30:31], v[40:41]
	s_delay_alu instid0(VALU_DEP_1) | instskip(SKIP_1) | instid1(TRANS32_DEP_1)
	v_rcp_f64_e32 v[44:45], v[42:43]
	v_nop
	v_fma_f64 v[46:47], -v[42:43], v[44:45], 1.0
	s_delay_alu instid0(VALU_DEP_1) | instskip(NEXT) | instid1(VALU_DEP_1)
	v_fmac_f64_e32 v[44:45], v[44:45], v[46:47]
	v_fma_f64 v[46:47], -v[42:43], v[44:45], 1.0
	s_delay_alu instid0(VALU_DEP_1) | instskip(SKIP_1) | instid1(VALU_DEP_1)
	v_fmac_f64_e32 v[44:45], v[44:45], v[46:47]
	v_div_scale_f64 v[46:47], vcc_lo, v[40:41], v[30:31], v[40:41]
	v_mul_f64_e32 v[48:49], v[46:47], v[44:45]
	s_delay_alu instid0(VALU_DEP_1) | instskip(NEXT) | instid1(VALU_DEP_1)
	v_fma_f64 v[42:43], -v[42:43], v[48:49], v[46:47]
	v_div_fmas_f64 v[42:43], v[42:43], v[44:45], v[48:49]
	s_delay_alu instid0(VALU_DEP_1) | instskip(NEXT) | instid1(VALU_DEP_1)
	v_div_fixup_f64 v[42:43], v[42:43], v[30:31], v[40:41]
	v_fma_f64 v[40:41], v[40:41], v[42:43], 0
	v_fma_f64 v[36:37], v[42:43], v[42:43], v[32:33]
	s_delay_alu instid0(VALU_DEP_2) | instskip(SKIP_2) | instid1(VALU_DEP_3)
	v_add_f64_e32 v[44:45], v[38:39], v[40:41]
	v_add_f64_e32 v[34:35], v[34:35], v[40:41]
	;; [unrolled: 1-line block ×3, first 2 shown]
	v_ldexp_f64 v[44:45], -v[44:45], 3
	s_delay_alu instid0(VALU_DEP_1) | instskip(NEXT) | instid1(VALU_DEP_1)
	v_fma_f64 v[36:37], |v[2:3]|, v[36:37], v[44:45]
	v_add_f64_e64 v[36:37], v[36:37], -v[40:41]
	s_delay_alu instid0(VALU_DEP_1) | instskip(NEXT) | instid1(VALU_DEP_1)
	v_add_f64_e32 v[36:37], v[16:17], v[36:37]
	v_add_f64_e32 v[36:37], v[34:35], v[36:37]
	;; [unrolled: 1-line block ×3, first 2 shown]
	s_delay_alu instid0(VALU_DEP_2) | instskip(NEXT) | instid1(VALU_DEP_1)
	v_mul_f64_e32 v[36:37], s[18:19], v[36:37]
	v_cmp_le_f64_e64 s2, |v[34:35]|, v[36:37]
	v_mul_f64_e32 v[36:37], v[42:43], v[42:43]
	s_or_b32 s2, s22, s2
	s_mov_b32 s22, s3
	s_and_b32 s2, exec_lo, s2
	s_delay_alu instid0(SALU_CYCLE_1)
	s_or_b32 s7, s2, s7
	s_wait_xcnt 0x0
	s_and_not1_b32 exec_lo, exec_lo, s7
	s_cbranch_execz .LBB23_260
.LBB23_244:                             ;   Parent Loop BB23_4 Depth=1
                                        ;     Parent Loop BB23_66 Depth=2
                                        ; =>    This Loop Header: Depth=3
                                        ;         Child Loop BB23_258 Depth 4
	global_load_b64 v[40:41], v[6:7], off offset:-16
	s_wait_loadcnt 0x0
	v_mul_f64_e32 v[44:45], v[30:31], v[40:41]
	v_fma_f64 v[42:43], -v[32:33], v[40:41], v[34:35]
	v_add_f64_e32 v[32:33], v[36:37], v[32:33]
	v_add_f64_e32 v[40:41], v[30:31], v[40:41]
	s_delay_alu instid0(VALU_DEP_4) | instskip(NEXT) | instid1(VALU_DEP_4)
	v_mul_f64_e32 v[38:39], v[34:35], v[44:45]
	v_fma_f64 v[42:43], -v[30:31], v[36:37], v[42:43]
	s_delay_alu instid0(VALU_DEP_4) | instskip(NEXT) | instid1(VALU_DEP_3)
	v_mul_f64_e32 v[36:37], v[32:33], v[44:45]
	v_mul_f64_e32 v[44:45], -4.0, v[38:39]
	s_delay_alu instid0(VALU_DEP_2) | instskip(NEXT) | instid1(VALU_DEP_2)
	v_fma_f64 v[40:41], v[34:35], v[40:41], -v[36:37]
	v_mul_f64_e32 v[36:37], v[44:45], v[42:43]
	s_delay_alu instid0(VALU_DEP_1) | instskip(NEXT) | instid1(VALU_DEP_1)
	v_fmac_f64_e32 v[36:37], v[40:41], v[40:41]
	v_cmp_gt_f64_e64 s2, 0x10000000, |v[36:37]|
	s_delay_alu instid0(VALU_DEP_1) | instskip(NEXT) | instid1(VALU_DEP_1)
	v_cndmask_b32_e64 v23, 0, 0x100, s2
	v_ldexp_f64 v[36:37], |v[36:37]|, v23
	v_cndmask_b32_e64 v23, 0, 0xffffff80, s2
	v_cmp_le_f64_e64 s2, 0, v[40:41]
	s_delay_alu instid0(VALU_DEP_3) | instskip(SKIP_1) | instid1(TRANS32_DEP_1)
	v_rsq_f64_e32 v[44:45], v[36:37]
	v_cmp_class_f64_e64 vcc_lo, v[36:37], 0x260
	v_mul_f64_e32 v[46:47], v[36:37], v[44:45]
	v_mul_f64_e32 v[44:45], 0.5, v[44:45]
	s_delay_alu instid0(VALU_DEP_1) | instskip(NEXT) | instid1(VALU_DEP_1)
	v_fma_f64 v[48:49], -v[44:45], v[46:47], 0.5
	v_fmac_f64_e32 v[46:47], v[46:47], v[48:49]
	v_fmac_f64_e32 v[44:45], v[44:45], v[48:49]
	s_delay_alu instid0(VALU_DEP_2) | instskip(NEXT) | instid1(VALU_DEP_1)
	v_fma_f64 v[48:49], -v[46:47], v[46:47], v[36:37]
	v_fmac_f64_e32 v[46:47], v[48:49], v[44:45]
	s_delay_alu instid0(VALU_DEP_1) | instskip(NEXT) | instid1(VALU_DEP_1)
	v_fma_f64 v[48:49], -v[46:47], v[46:47], v[36:37]
	v_fmac_f64_e32 v[46:47], v[48:49], v[44:45]
	s_delay_alu instid0(VALU_DEP_1) | instskip(NEXT) | instid1(VALU_DEP_1)
	v_ldexp_f64 v[44:45], v[46:47], v23
	v_dual_cndmask_b32 v45, v45, v37 :: v_dual_cndmask_b32 v44, v44, v36
                                        ; implicit-def: $vgpr36_vgpr37
	s_wait_xcnt 0x0
	s_and_saveexec_b32 s3, s2
	s_delay_alu instid0(SALU_CYCLE_1)
	s_xor_b32 s2, exec_lo, s3
	s_cbranch_execz .LBB23_246
; %bb.245:                              ;   in Loop: Header=BB23_244 Depth=3
	v_add_f64_e32 v[36:37], v[40:41], v[44:45]
	v_add_f64_e32 v[38:39], v[42:43], v[42:43]
	s_delay_alu instid0(VALU_DEP_1) | instskip(NEXT) | instid1(VALU_DEP_1)
	v_div_scale_f64 v[40:41], null, v[38:39], v[38:39], v[36:37]
	v_rcp_f64_e32 v[42:43], v[40:41]
	v_nop
	s_delay_alu instid0(TRANS32_DEP_1) | instskip(NEXT) | instid1(VALU_DEP_1)
	v_fma_f64 v[44:45], -v[40:41], v[42:43], 1.0
	v_fmac_f64_e32 v[42:43], v[42:43], v[44:45]
	s_delay_alu instid0(VALU_DEP_1) | instskip(NEXT) | instid1(VALU_DEP_1)
	v_fma_f64 v[44:45], -v[40:41], v[42:43], 1.0
	v_fmac_f64_e32 v[42:43], v[42:43], v[44:45]
	v_div_scale_f64 v[44:45], vcc_lo, v[36:37], v[38:39], v[36:37]
	s_delay_alu instid0(VALU_DEP_1) | instskip(NEXT) | instid1(VALU_DEP_1)
	v_mul_f64_e32 v[46:47], v[44:45], v[42:43]
	v_fma_f64 v[40:41], -v[40:41], v[46:47], v[44:45]
                                        ; implicit-def: $vgpr44_vgpr45
	s_delay_alu instid0(VALU_DEP_1) | instskip(NEXT) | instid1(VALU_DEP_1)
	v_div_fmas_f64 v[40:41], v[40:41], v[42:43], v[46:47]
	v_div_fixup_f64 v[36:37], v[40:41], v[38:39], v[36:37]
                                        ; implicit-def: $vgpr38_vgpr39
                                        ; implicit-def: $vgpr40_vgpr41
.LBB23_246:                             ;   in Loop: Header=BB23_244 Depth=3
	s_and_not1_saveexec_b32 s2, s2
	s_cbranch_execz .LBB23_248
; %bb.247:                              ;   in Loop: Header=BB23_244 Depth=3
	v_add_f64_e32 v[36:37], v[38:39], v[38:39]
	v_add_f64_e64 v[38:39], v[40:41], -v[44:45]
	s_delay_alu instid0(VALU_DEP_1) | instskip(NEXT) | instid1(VALU_DEP_1)
	v_div_scale_f64 v[40:41], null, v[38:39], v[38:39], v[36:37]
	v_rcp_f64_e32 v[42:43], v[40:41]
	v_nop
	s_delay_alu instid0(TRANS32_DEP_1) | instskip(NEXT) | instid1(VALU_DEP_1)
	v_fma_f64 v[44:45], -v[40:41], v[42:43], 1.0
	v_fmac_f64_e32 v[42:43], v[42:43], v[44:45]
	s_delay_alu instid0(VALU_DEP_1) | instskip(NEXT) | instid1(VALU_DEP_1)
	v_fma_f64 v[44:45], -v[40:41], v[42:43], 1.0
	v_fmac_f64_e32 v[42:43], v[42:43], v[44:45]
	v_div_scale_f64 v[44:45], vcc_lo, v[36:37], v[38:39], v[36:37]
	s_delay_alu instid0(VALU_DEP_1) | instskip(NEXT) | instid1(VALU_DEP_1)
	v_mul_f64_e32 v[46:47], v[44:45], v[42:43]
	v_fma_f64 v[40:41], -v[40:41], v[46:47], v[44:45]
	s_delay_alu instid0(VALU_DEP_1) | instskip(NEXT) | instid1(VALU_DEP_1)
	v_div_fmas_f64 v[40:41], v[40:41], v[42:43], v[46:47]
	v_div_fixup_f64 v[36:37], v[40:41], v[38:39], v[36:37]
.LBB23_248:                             ;   in Loop: Header=BB23_244 Depth=3
	s_or_b32 exec_lo, exec_lo, s2
	s_delay_alu instid0(VALU_DEP_1) | instskip(SKIP_1) | instid1(VALU_DEP_1)
	v_mul_f64_e32 v[38:39], v[34:35], v[36:37]
	s_mov_b32 s2, exec_lo
	v_cmpx_lt_f64_e32 0, v[38:39]
	s_cbranch_execz .LBB23_250
; %bb.249:                              ;   in Loop: Header=BB23_244 Depth=3
	v_div_scale_f64 v[36:37], null, v[32:33], v[32:33], -v[34:35]
	s_delay_alu instid0(VALU_DEP_1) | instskip(SKIP_1) | instid1(TRANS32_DEP_1)
	v_rcp_f64_e32 v[38:39], v[36:37]
	v_nop
	v_fma_f64 v[40:41], -v[36:37], v[38:39], 1.0
	s_delay_alu instid0(VALU_DEP_1) | instskip(NEXT) | instid1(VALU_DEP_1)
	v_fmac_f64_e32 v[38:39], v[38:39], v[40:41]
	v_fma_f64 v[40:41], -v[36:37], v[38:39], 1.0
	s_delay_alu instid0(VALU_DEP_1) | instskip(SKIP_1) | instid1(VALU_DEP_1)
	v_fmac_f64_e32 v[38:39], v[38:39], v[40:41]
	v_div_scale_f64 v[40:41], vcc_lo, -v[34:35], v[32:33], -v[34:35]
	v_mul_f64_e32 v[42:43], v[40:41], v[38:39]
	s_delay_alu instid0(VALU_DEP_1) | instskip(NEXT) | instid1(VALU_DEP_1)
	v_fma_f64 v[36:37], -v[36:37], v[42:43], v[40:41]
	v_div_fmas_f64 v[36:37], v[36:37], v[38:39], v[42:43]
	s_delay_alu instid0(VALU_DEP_1)
	v_div_fixup_f64 v[36:37], v[36:37], v[32:33], -v[34:35]
.LBB23_250:                             ;   in Loop: Header=BB23_244 Depth=3
	s_or_b32 exec_lo, exec_lo, s2
	v_cmp_lt_f64_e32 vcc_lo, v[28:29], v[2:3]
	v_cmp_lt_f64_e64 s2, 0, v[34:35]
	v_cmp_lt_f64_e64 s3, v[2:3], v[8:9]
	v_dual_cndmask_b32 v23, v28, v2 :: v_dual_cndmask_b32 v38, v29, v3
	v_cmp_nge_f64_e32 vcc_lo, 0, v[34:35]
	s_and_b32 s2, s2, s3
	s_delay_alu instid0(SALU_CYCLE_1) | instskip(NEXT) | instid1(VALU_DEP_3)
	v_dual_add_f64 v[32:33], v[2:3], v[36:37] :: v_dual_cndmask_b32 v9, v9, v3, s2
	v_dual_cndmask_b32 v8, v8, v2, s2 :: v_dual_cndmask_b32 v29, v38, v29, vcc_lo
	v_cndmask_b32_e32 v28, v23, v28, vcc_lo
	s_delay_alu instid0(VALU_DEP_2) | instskip(NEXT) | instid1(VALU_DEP_2)
	v_cmp_gt_f64_e32 vcc_lo, v[32:33], v[8:9]
	v_cmp_lt_f64_e64 s2, v[32:33], v[28:29]
	s_or_b32 s3, vcc_lo, s2
	s_delay_alu instid0(SALU_CYCLE_1)
	s_and_saveexec_b32 s2, s3
	s_cbranch_execz .LBB23_256
; %bb.251:                              ;   in Loop: Header=BB23_244 Depth=3
	s_mov_b32 s3, exec_lo
                                        ; implicit-def: $vgpr36_vgpr37
	v_cmpx_ngt_f64_e32 0, v[34:35]
	s_xor_b32 s3, exec_lo, s3
	s_cbranch_execz .LBB23_253
; %bb.252:                              ;   in Loop: Header=BB23_244 Depth=3
	v_add_f64_e64 v[32:33], v[28:29], -v[2:3]
	s_delay_alu instid0(VALU_DEP_1)
	v_mul_f64_e32 v[36:37], 0.5, v[32:33]
.LBB23_253:                             ;   in Loop: Header=BB23_244 Depth=3
	s_and_not1_saveexec_b32 s3, s3
	s_cbranch_execz .LBB23_255
; %bb.254:                              ;   in Loop: Header=BB23_244 Depth=3
	v_add_f64_e64 v[32:33], v[8:9], -v[2:3]
	s_delay_alu instid0(VALU_DEP_1)
	v_mul_f64_e32 v[36:37], 0.5, v[32:33]
.LBB23_255:                             ;   in Loop: Header=BB23_244 Depth=3
	s_or_b32 exec_lo, exec_lo, s3
.LBB23_256:                             ;   in Loop: Header=BB23_244 Depth=3
	s_delay_alu instid0(SALU_CYCLE_1)
	s_or_b32 exec_lo, exec_lo, s2
	v_mov_b64_e32 v[32:33], 0
	v_mov_b64_e32 v[34:35], 0
	;; [unrolled: 1-line block ×3, first 2 shown]
	s_and_not1_b32 vcc_lo, exec_lo, s103
	s_cbranch_vccnz .LBB23_243
; %bb.257:                              ;   in Loop: Header=BB23_244 Depth=3
	v_mov_b64_e32 v[32:33], 0
	v_mov_b64_e32 v[34:35], 0
	;; [unrolled: 1-line block ×4, first 2 shown]
	s_mov_b64 s[2:3], s[66:67]
	s_mov_b32 s52, s72
.LBB23_258:                             ;   Parent Loop BB23_4 Depth=1
                                        ;     Parent Loop BB23_66 Depth=2
                                        ;       Parent Loop BB23_244 Depth=3
                                        ; =>      This Inner Loop Header: Depth=4
	global_load_b64 v[40:41], v[30:31], off
	s_add_co_i32 s52, s52, -1
	s_delay_alu instid0(SALU_CYCLE_1)
	s_cmp_eq_u32 s52, 0
	s_wait_loadcnt 0x0
	v_add_f64_e64 v[40:41], v[40:41], -v[36:37]
	global_store_b64 v[30:31], v[40:41], off
	global_load_b64 v[42:43], v11, s[2:3]
	s_wait_xcnt 0x1
	v_add_nc_u64_e32 v[30:31], 8, v[30:31]
	s_wait_xcnt 0x0
	s_add_nc_u64 s[2:3], s[2:3], 8
	s_wait_loadcnt 0x0
	v_div_scale_f64 v[44:45], null, v[40:41], v[40:41], v[42:43]
	v_div_scale_f64 v[50:51], vcc_lo, v[42:43], v[40:41], v[42:43]
	s_delay_alu instid0(VALU_DEP_2) | instskip(SKIP_1) | instid1(TRANS32_DEP_1)
	v_rcp_f64_e32 v[46:47], v[44:45]
	v_nop
	v_fma_f64 v[48:49], -v[44:45], v[46:47], 1.0
	s_delay_alu instid0(VALU_DEP_1) | instskip(NEXT) | instid1(VALU_DEP_1)
	v_fmac_f64_e32 v[46:47], v[46:47], v[48:49]
	v_fma_f64 v[48:49], -v[44:45], v[46:47], 1.0
	s_delay_alu instid0(VALU_DEP_1) | instskip(NEXT) | instid1(VALU_DEP_1)
	v_fmac_f64_e32 v[46:47], v[46:47], v[48:49]
	v_mul_f64_e32 v[48:49], v[50:51], v[46:47]
	s_delay_alu instid0(VALU_DEP_1) | instskip(NEXT) | instid1(VALU_DEP_1)
	v_fma_f64 v[44:45], -v[44:45], v[48:49], v[50:51]
	v_div_fmas_f64 v[44:45], v[44:45], v[46:47], v[48:49]
	s_delay_alu instid0(VALU_DEP_1) | instskip(NEXT) | instid1(VALU_DEP_1)
	v_div_fixup_f64 v[40:41], v[44:45], v[40:41], v[42:43]
	v_fmac_f64_e32 v[38:39], v[42:43], v[40:41]
	v_fmac_f64_e32 v[32:33], v[40:41], v[40:41]
	s_delay_alu instid0(VALU_DEP_2)
	v_add_f64_e32 v[34:35], v[34:35], v[38:39]
	s_cbranch_scc0 .LBB23_258
; %bb.259:                              ;   in Loop: Header=BB23_244 Depth=3
	global_load_b64 v[30:31], v[6:7], off offset:-8
	v_and_b32_e32 v35, 0x7fffffff, v35
	s_branch .LBB23_243
.LBB23_260:                             ;   in Loop: Header=BB23_66 Depth=2
	s_or_b32 exec_lo, exec_lo, s7
.LBB23_261:                             ;   in Loop: Header=BB23_66 Depth=2
	s_delay_alu instid0(SALU_CYCLE_1)
	s_or_b32 exec_lo, exec_lo, s4
.LBB23_262:                             ;   in Loop: Header=BB23_66 Depth=2
	s_delay_alu instid0(SALU_CYCLE_1)
	s_or_b32 exec_lo, exec_lo, s6
	v_add_f64_e32 v[8:9], v[4:5], v[2:3]
	s_or_b32 exec_lo, exec_lo, s5
	global_store_b64 v[24:25], v[8:9], off
	s_wait_xcnt 0x0
	s_and_b32 exec_lo, exec_lo, s1
	s_cbranch_execz .LBB23_65
.LBB23_263:                             ;   in Loop: Header=BB23_66 Depth=2
	v_xor_b32_e32 v9, 0x80000000, v9
	global_store_b64 v[24:25], v[8:9], off
	s_branch .LBB23_65
.LBB23_264:                             ;   in Loop: Header=BB23_4 Depth=1
	s_or_b32 exec_lo, exec_lo, s99
	s_wait_storecnt 0x0
	s_barrier_signal -1
	s_barrier_wait -1
	s_and_saveexec_b32 s22, s0
	s_cbranch_execz .LBB23_2
; %bb.265:                              ;   in Loop: Header=BB23_4 Depth=1
	v_mov_b32_e32 v10, v0
	s_lshl_b64 s[0:1], s[62:63], 2
	s_add_nc_u64 s[2:3], s[10:11], s[70:71]
	s_add_nc_u64 s[4:5], s[38:39], s[0:1]
	;; [unrolled: 1-line block ×3, first 2 shown]
	s_mov_b32 s52, 0
	s_branch .LBB23_268
.LBB23_266:                             ;   in Loop: Header=BB23_268 Depth=2
	s_delay_alu instid0(VALU_DEP_2) | instskip(NEXT) | instid1(VALU_DEP_1)
	v_cmp_gt_f64_e64 s0, 0x10000000, |v[2:3]|
	v_cndmask_b32_e64 v4, 0, 0x100, s0
	s_delay_alu instid0(VALU_DEP_1) | instskip(NEXT) | instid1(VALU_DEP_1)
	v_ldexp_f64 v[2:3], |v[2:3]|, v4
	v_rsq_f64_e32 v[4:5], v[2:3]
	v_cmp_class_f64_e64 vcc_lo, v[2:3], 0x260
	s_delay_alu instid0(TRANS32_DEP_1) | instskip(SKIP_1) | instid1(VALU_DEP_1)
	v_mul_f64_e32 v[6:7], v[2:3], v[4:5]
	v_mul_f64_e32 v[4:5], 0.5, v[4:5]
	v_fma_f64 v[8:9], -v[4:5], v[6:7], 0.5
	s_delay_alu instid0(VALU_DEP_1) | instskip(SKIP_1) | instid1(VALU_DEP_2)
	v_fmac_f64_e32 v[6:7], v[6:7], v[8:9]
	v_fmac_f64_e32 v[4:5], v[4:5], v[8:9]
	v_fma_f64 v[8:9], -v[6:7], v[6:7], v[2:3]
	s_delay_alu instid0(VALU_DEP_1) | instskip(NEXT) | instid1(VALU_DEP_1)
	v_fmac_f64_e32 v[6:7], v[8:9], v[4:5]
	v_fma_f64 v[8:9], -v[6:7], v[6:7], v[2:3]
	s_delay_alu instid0(VALU_DEP_1) | instskip(SKIP_1) | instid1(VALU_DEP_1)
	v_fmac_f64_e32 v[6:7], v[8:9], v[4:5]
	v_cndmask_b32_e64 v4, 0, 0xffffff80, s0
	v_ldexp_f64 v[4:5], v[6:7], v4
	s_delay_alu instid0(VALU_DEP_1)
	v_dual_cndmask_b32 v3, v5, v3 :: v_dual_cndmask_b32 v2, v4, v2
.LBB23_267:                             ;   in Loop: Header=BB23_268 Depth=2
	v_lshl_add_u64 v[4:5], v[10:11], 3, s[66:67]
	s_delay_alu instid0(VALU_DEP_2) | instskip(SKIP_3) | instid1(VALU_DEP_1)
	v_xor_b32_e32 v8, 0x80000000, v3
	global_load_b64 v[6:7], v[4:5], off
	s_wait_loadcnt 0x0
	v_cmp_gt_f64_e64 s0, 0, v[6:7]
	v_dual_add_nc_u32 v10, s27, v10 :: v_dual_cndmask_b32 v3, v3, v8, s0
	s_delay_alu instid0(VALU_DEP_1)
	v_cmp_le_u32_e32 vcc_lo, s60, v10
	global_store_b64 v[4:5], v[2:3], off
	s_or_b32 s52, vcc_lo, s52
	s_wait_xcnt 0x0
	s_and_not1_b32 exec_lo, exec_lo, s52
	s_cbranch_execz .LBB23_2
.LBB23_268:                             ;   Parent Loop BB23_4 Depth=1
                                        ; =>  This Loop Header: Depth=2
                                        ;       Child Loop BB23_272 Depth 3
	v_mov_b64_e32 v[2:3], 1.0
	s_and_not1_b32 vcc_lo, exec_lo, s98
	s_cbranch_vccnz .LBB23_267
; %bb.269:                              ;   in Loop: Header=BB23_268 Depth=2
	v_lshl_add_u64 v[4:5], v[10:11], 2, s[4:5]
	v_mov_b32_e32 v8, v10
	s_mov_b32 s53, 0
	s_mov_b64 s[0:1], s[2:3]
	s_mov_b64 s[62:63], s[6:7]
	s_branch .LBB23_272
.LBB23_270:                             ;   in Loop: Header=BB23_272 Depth=3
	s_wait_xcnt 0x0
	s_or_b32 exec_lo, exec_lo, s61
	s_wait_loadcnt 0x0
	s_delay_alu instid0(VALU_DEP_1)
	v_mul_f64_e32 v[2:3], v[2:3], v[6:7]
.LBB23_271:                             ;   in Loop: Header=BB23_272 Depth=3
	v_add_nc_u32_e32 v8, s26, v8
	s_add_co_i32 s53, s53, 1
	s_wait_xcnt 0x0
	s_add_nc_u64 s[62:63], s[62:63], 4
	s_cmp_eq_u32 s25, s53
	s_add_nc_u64 s[0:1], s[0:1], 8
	s_cbranch_scc1 .LBB23_266
.LBB23_272:                             ;   Parent Loop BB23_4 Depth=1
                                        ;     Parent Loop BB23_268 Depth=2
                                        ; =>    This Inner Loop Header: Depth=3
	global_load_b32 v6, v11, s[62:63]
	s_wait_loadcnt 0x0
	v_cmp_ne_u32_e32 vcc_lo, 1, v6
	s_cbranch_vccnz .LBB23_271
; %bb.273:                              ;   in Loop: Header=BB23_272 Depth=3
	global_load_b32 v9, v[4:5], off offset:8
	global_load_b64 v[6:7], v8, s[64:65] scale_offset
	s_mov_b32 s61, exec_lo
	s_wait_loadcnt 0x1
	s_wait_xcnt 0x0
	v_cmpx_ne_u32_e64 s53, v9
	s_cbranch_execz .LBB23_270
; %bb.274:                              ;   in Loop: Header=BB23_272 Depth=3
	global_load_b64 v[14:15], v9, s[2:3] scale_offset
	global_load_b64 v[16:17], v11, s[0:1]
	s_wait_loadcnt 0x0
	v_add_f64_e64 v[14:15], v[14:15], -v[16:17]
	s_delay_alu instid0(VALU_DEP_1) | instskip(NEXT) | instid1(VALU_DEP_1)
	v_div_scale_f64 v[16:17], null, v[14:15], v[14:15], v[6:7]
	v_rcp_f64_e32 v[18:19], v[16:17]
	v_nop
	s_delay_alu instid0(TRANS32_DEP_1) | instskip(NEXT) | instid1(VALU_DEP_1)
	v_fma_f64 v[20:21], -v[16:17], v[18:19], 1.0
	v_fmac_f64_e32 v[18:19], v[18:19], v[20:21]
	s_delay_alu instid0(VALU_DEP_1) | instskip(NEXT) | instid1(VALU_DEP_1)
	v_fma_f64 v[20:21], -v[16:17], v[18:19], 1.0
	v_fmac_f64_e32 v[18:19], v[18:19], v[20:21]
	v_div_scale_f64 v[20:21], vcc_lo, v[6:7], v[14:15], v[6:7]
	s_delay_alu instid0(VALU_DEP_1) | instskip(NEXT) | instid1(VALU_DEP_1)
	v_mul_f64_e32 v[22:23], v[20:21], v[18:19]
	v_fma_f64 v[16:17], -v[16:17], v[22:23], v[20:21]
	s_delay_alu instid0(VALU_DEP_1) | instskip(NEXT) | instid1(VALU_DEP_1)
	v_div_fmas_f64 v[16:17], v[16:17], v[18:19], v[22:23]
	v_div_fixup_f64 v[6:7], v[16:17], v[14:15], v[6:7]
	s_branch .LBB23_270
.LBB23_275:
	s_sendmsg sendmsg(MSG_DEALLOC_VGPRS)
	s_endpgm
	.section	.rodata,"a",@progbits
	.p2align	6, 0x0
	.amdhsa_kernel _ZN9rocsolver6v33100L25stedcx_mergeValues_kernelIdEEviiPT_lS3_lS3_S3_PiS2_S2_S2_
		.amdhsa_group_segment_fixed_size 0
		.amdhsa_private_segment_fixed_size 0
		.amdhsa_kernarg_size 344
		.amdhsa_user_sgpr_count 2
		.amdhsa_user_sgpr_dispatch_ptr 0
		.amdhsa_user_sgpr_queue_ptr 0
		.amdhsa_user_sgpr_kernarg_segment_ptr 1
		.amdhsa_user_sgpr_dispatch_id 0
		.amdhsa_user_sgpr_kernarg_preload_length 0
		.amdhsa_user_sgpr_kernarg_preload_offset 0
		.amdhsa_user_sgpr_private_segment_size 0
		.amdhsa_wavefront_size32 1
		.amdhsa_uses_dynamic_stack 0
		.amdhsa_enable_private_segment 0
		.amdhsa_system_sgpr_workgroup_id_x 1
		.amdhsa_system_sgpr_workgroup_id_y 1
		.amdhsa_system_sgpr_workgroup_id_z 1
		.amdhsa_system_sgpr_workgroup_info 0
		.amdhsa_system_vgpr_workitem_id 0
		.amdhsa_next_free_vgpr 84
		.amdhsa_next_free_sgpr 105
		.amdhsa_named_barrier_count 0
		.amdhsa_reserve_vcc 1
		.amdhsa_float_round_mode_32 0
		.amdhsa_float_round_mode_16_64 0
		.amdhsa_float_denorm_mode_32 3
		.amdhsa_float_denorm_mode_16_64 3
		.amdhsa_fp16_overflow 0
		.amdhsa_memory_ordered 1
		.amdhsa_forward_progress 1
		.amdhsa_inst_pref_size 130
		.amdhsa_round_robin_scheduling 0
		.amdhsa_exception_fp_ieee_invalid_op 0
		.amdhsa_exception_fp_denorm_src 0
		.amdhsa_exception_fp_ieee_div_zero 0
		.amdhsa_exception_fp_ieee_overflow 0
		.amdhsa_exception_fp_ieee_underflow 0
		.amdhsa_exception_fp_ieee_inexact 0
		.amdhsa_exception_int_div_zero 0
	.end_amdhsa_kernel
	.section	.text._ZN9rocsolver6v33100L25stedcx_mergeValues_kernelIdEEviiPT_lS3_lS3_S3_PiS2_S2_S2_,"axG",@progbits,_ZN9rocsolver6v33100L25stedcx_mergeValues_kernelIdEEviiPT_lS3_lS3_S3_PiS2_S2_S2_,comdat
.Lfunc_end23:
	.size	_ZN9rocsolver6v33100L25stedcx_mergeValues_kernelIdEEviiPT_lS3_lS3_S3_PiS2_S2_S2_, .Lfunc_end23-_ZN9rocsolver6v33100L25stedcx_mergeValues_kernelIdEEviiPT_lS3_lS3_S3_PiS2_S2_S2_
                                        ; -- End function
	.set _ZN9rocsolver6v33100L25stedcx_mergeValues_kernelIdEEviiPT_lS3_lS3_S3_PiS2_S2_S2_.num_vgpr, 84
	.set _ZN9rocsolver6v33100L25stedcx_mergeValues_kernelIdEEviiPT_lS3_lS3_S3_PiS2_S2_S2_.num_agpr, 0
	.set _ZN9rocsolver6v33100L25stedcx_mergeValues_kernelIdEEviiPT_lS3_lS3_S3_PiS2_S2_S2_.numbered_sgpr, 105
	.set _ZN9rocsolver6v33100L25stedcx_mergeValues_kernelIdEEviiPT_lS3_lS3_S3_PiS2_S2_S2_.num_named_barrier, 0
	.set _ZN9rocsolver6v33100L25stedcx_mergeValues_kernelIdEEviiPT_lS3_lS3_S3_PiS2_S2_S2_.private_seg_size, 0
	.set _ZN9rocsolver6v33100L25stedcx_mergeValues_kernelIdEEviiPT_lS3_lS3_S3_PiS2_S2_S2_.uses_vcc, 1
	.set _ZN9rocsolver6v33100L25stedcx_mergeValues_kernelIdEEviiPT_lS3_lS3_S3_PiS2_S2_S2_.uses_flat_scratch, 0
	.set _ZN9rocsolver6v33100L25stedcx_mergeValues_kernelIdEEviiPT_lS3_lS3_S3_PiS2_S2_S2_.has_dyn_sized_stack, 0
	.set _ZN9rocsolver6v33100L25stedcx_mergeValues_kernelIdEEviiPT_lS3_lS3_S3_PiS2_S2_S2_.has_recursion, 0
	.set _ZN9rocsolver6v33100L25stedcx_mergeValues_kernelIdEEviiPT_lS3_lS3_S3_PiS2_S2_S2_.has_indirect_call, 0
	.section	.AMDGPU.csdata,"",@progbits
; Kernel info:
; codeLenInByte = 16560
; TotalNumSgprs: 107
; NumVgprs: 84
; ScratchSize: 0
; MemoryBound: 1
; FloatMode: 240
; IeeeMode: 1
; LDSByteSize: 0 bytes/workgroup (compile time only)
; SGPRBlocks: 0
; VGPRBlocks: 5
; NumSGPRsForWavesPerEU: 107
; NumVGPRsForWavesPerEU: 84
; NamedBarCnt: 0
; Occupancy: 10
; WaveLimiterHint : 1
; COMPUTE_PGM_RSRC2:SCRATCH_EN: 0
; COMPUTE_PGM_RSRC2:USER_SGPR: 2
; COMPUTE_PGM_RSRC2:TRAP_HANDLER: 0
; COMPUTE_PGM_RSRC2:TGID_X_EN: 1
; COMPUTE_PGM_RSRC2:TGID_Y_EN: 1
; COMPUTE_PGM_RSRC2:TGID_Z_EN: 1
; COMPUTE_PGM_RSRC2:TIDIG_COMP_CNT: 0
	.section	.text._ZN9rocsolver6v33100L26stedcx_mergeVectors_kernelILb0EdEEviiPT0_lS3_lS3_iilS3_S3_Pi,"axG",@progbits,_ZN9rocsolver6v33100L26stedcx_mergeVectors_kernelILb0EdEEviiPT0_lS3_lS3_iilS3_S3_Pi,comdat
	.globl	_ZN9rocsolver6v33100L26stedcx_mergeVectors_kernelILb0EdEEviiPT0_lS3_lS3_iilS3_S3_Pi ; -- Begin function _ZN9rocsolver6v33100L26stedcx_mergeVectors_kernelILb0EdEEviiPT0_lS3_lS3_iilS3_S3_Pi
	.p2align	8
	.type	_ZN9rocsolver6v33100L26stedcx_mergeVectors_kernelILb0EdEEviiPT0_lS3_lS3_iilS3_S3_Pi,@function
_ZN9rocsolver6v33100L26stedcx_mergeVectors_kernelILb0EdEEviiPT0_lS3_lS3_iilS3_S3_Pi: ; @_ZN9rocsolver6v33100L26stedcx_mergeVectors_kernelILb0EdEEviiPT0_lS3_lS3_iilS3_S3_Pi
; %bb.0:
	s_clause 0x1
	s_load_b128 s[12:15], s[0:1], 0x28
	s_load_b256 s[4:11], s[0:1], 0x38
	s_bfe_u32 s2, ttmp6, 0x40014
	s_lshr_b32 s3, ttmp7, 16
	s_add_co_i32 s2, s2, 1
	s_bfe_u32 s16, ttmp6, 0x40008
	s_mul_i32 s2, s3, s2
	s_getreg_b32 s26, hwreg(HW_REG_IB_STS2, 6, 4)
	s_add_co_i32 s16, s16, s2
	s_cmp_eq_u32 s26, 0
	s_mov_b32 s23, 0
	s_cselect_b32 s22, s3, s16
	s_wait_kmcnt 0x0
	s_cmp_eq_u64 s[12:13], 0
	s_cbranch_scc1 .LBB24_2
; %bb.1:
	s_mul_u64 s[2:3], s[4:5], s[22:23]
	s_ashr_i32 s5, s14, 31
	s_lshl_b64 s[2:3], s[2:3], 3
	s_mov_b32 s4, s14
	s_add_nc_u64 s[2:3], s[12:13], s[2:3]
	s_lshl_b64 s[4:5], s[4:5], 3
	s_delay_alu instid0(SALU_CYCLE_1)
	s_add_nc_u64 s[2:3], s[2:3], s[4:5]
	s_branch .LBB24_3
.LBB24_2:
                                        ; implicit-def: $sgpr2_sgpr3
.LBB24_3:
	s_load_b64 s[4:5], s[0:1], 0x0
	s_bfe_u32 s12, ttmp6, 0x40010
	s_and_b32 s13, ttmp7, 0xffff
	s_add_co_i32 s12, s12, 1
	s_bfe_u32 s14, ttmp6, 0x40004
	s_mul_i32 s12, s13, s12
	s_delay_alu instid0(SALU_CYCLE_1)
	s_add_co_i32 s14, s14, s12
	s_cmp_eq_u32 s26, 0
	s_cselect_b32 s12, s13, s14
	s_wait_kmcnt 0x0
	s_mul_i32 s16, s5, 5
	s_ashr_i32 s37, s5, 31
	s_add_co_i32 s13, s16, 2
	s_mov_b32 s36, s5
	s_mul_i32 s16, s13, s22
	s_lshl_b64 s[28:29], s[36:37], 2
	s_ashr_i32 s17, s16, 31
	s_delay_alu instid0(SALU_CYCLE_1) | instskip(NEXT) | instid1(SALU_CYCLE_1)
	s_lshl_b64 s[34:35], s[16:17], 2
	s_add_nc_u64 s[16:17], s[10:11], s[34:35]
	s_delay_alu instid0(SALU_CYCLE_1)
	s_add_nc_u64 s[18:19], s[16:17], s[28:29]
	s_load_b32 s14, s[18:19], 0x4
	s_wait_kmcnt 0x0
	s_cmp_ge_i32 s12, s14
	s_cbranch_scc1 .LBB24_65
; %bb.4:
	s_load_b32 s13, s[0:1], 0x64
	s_wait_xcnt 0x0
	s_lshl_b32 s0, s22, 1
	s_mul_i32 s22, s5, s5
	s_bfe_u32 s1, ttmp6, 0x4000c
	s_mul_i32 s38, s0, s5
	s_mul_i32 s0, s0, s22
	s_add_co_i32 s30, s1, 1
	s_and_b32 s27, ttmp6, 15
	s_ashr_i32 s1, s0, 31
	s_mul_i32 s30, ttmp9, s30
	s_ashr_i32 s39, s38, 31
	s_lshl_b64 s[40:41], s[0:1], 3
	s_add_co_i32 s0, s27, s30
	s_cmp_eq_u32 s26, 0
	v_dual_mov_b32 v3, 0 :: v_dual_lshlrev_b32 v2, 3, v0
	s_cselect_b32 s33, ttmp9, s0
	s_lshl_b32 s51, 2, s4
	s_not_b32 s52, s4
	v_cvt_f32_u32_e32 v6, s51
	s_wait_kmcnt 0x0
	s_and_b32 s50, 0xffff, s13
	s_mul_u64 s[42:43], s[36:37], 12
	s_cmp_gt_u32 s50, 1
	v_add_nc_u32_e32 v1, 0, v2
	s_cselect_b32 s53, -1, 0
	s_lshl_b64 s[38:39], s[38:39], 3
	s_lshl_b64 s[36:37], s[36:37], 4
	s_add_nc_u64 s[6:7], s[6:7], s[38:39]
	v_rcp_iflag_f32_e32 v8, v6
	v_add_nc_u64_e32 v[4:5], s[6:7], v[2:3]
	v_lshlrev_b32_e32 v2, 2, v0
	s_add_nc_u64 s[6:7], s[36:37], s[34:35]
	s_add_nc_u64 s[30:31], s[28:29], s[34:35]
	s_add_nc_u64 s[6:7], s[10:11], s[6:7]
	s_add_nc_u64 s[42:43], s[42:43], s[34:35]
	v_add_nc_u64_e32 v[6:7], s[6:7], v[2:3]
	v_mul_f32_e32 v2, 0x4f7ffffe, v8
	s_add_nc_u64 s[30:31], s[10:11], s[30:31]
	s_add_nc_u64 s[34:35], s[10:11], s[42:43]
	s_lshl_b64 s[10:11], s[22:23], 3
	v_cmp_eq_u32_e64 s0, 0, v0
	v_cvt_u32_f32_e32 v2, v2
	v_add_nc_u64_e32 v[6:7], 8, v[6:7]
	s_add_nc_u64 s[20:21], s[18:19], s[28:29]
	s_add_nc_u64 s[10:11], s[40:41], s[10:11]
	;; [unrolled: 1-line block ×4, first 2 shown]
	s_ashr_i32 s54, s33, 31
	s_abs_i32 s28, s33
	s_mov_b32 s29, s23
	s_add_nc_u64 s[30:31], s[30:31], 8
	s_add_nc_u64 s[6:7], s[34:35], 8
	;; [unrolled: 1-line block ×3, first 2 shown]
	s_lshl_b32 s10, s50, 3
	s_mov_b32 s11, s23
	s_lshl_b32 s34, s50, 2
	s_mov_b32 s35, s23
	s_sub_co_i32 s55, 0, s51
                                        ; implicit-def: $vgpr8_vgpr9
	s_branch .LBB24_6
.LBB24_5:                               ;   in Loop: Header=BB24_6 Depth=1
	s_add_co_i32 s12, s12, 8
	s_delay_alu instid0(SALU_CYCLE_1)
	s_cmp_ge_i32 s12, s14
	s_cbranch_scc1 .LBB24_65
.LBB24_6:                               ; =>This Loop Header: Depth=1
                                        ;     Child Loop BB24_15 Depth 2
                                        ;     Child Loop BB24_19 Depth 2
	;; [unrolled: 1-line block ×9, first 2 shown]
                                        ;       Child Loop BB24_53 Depth 3
                                        ;       Child Loop BB24_56 Depth 3
	s_ashr_i32 s13, s12, 31
	s_delay_alu instid0(SALU_CYCLE_1)
	s_lshl_b64 s[36:37], s[12:13], 2
	s_barrier_signal -1
	s_add_nc_u64 s[38:39], s[16:17], s[36:37]
	s_barrier_wait -1
	s_load_b64 s[36:37], s[38:39], 0x0
	s_mov_b32 s1, 0
	s_wait_kmcnt 0x0
	s_sub_co_i32 s13, s37, s36
	s_delay_alu instid0(SALU_CYCLE_1)
	s_cmp_lt_i32 s13, 3
	s_cbranch_scc1 .LBB24_11
; %bb.7:                                ;   in Loop: Header=BB24_6 Depth=1
	s_cmp_lt_u32 s13, 5
	s_mov_b32 s1, 1
	s_cbranch_scc1 .LBB24_11
; %bb.8:                                ;   in Loop: Header=BB24_6 Depth=1
	s_cmp_lt_u32 s13, 33
	s_mov_b32 s1, 2
	;; [unrolled: 4-line block ×3, first 2 shown]
	s_cbranch_scc1 .LBB24_11
; %bb.10:                               ;   in Loop: Header=BB24_6 Depth=1
	s_cmp_lt_u32 s13, 0x128
	s_cselect_b32 s1, 5, 7
	s_cmp_lt_u32 s13, 0x79b
	s_cselect_b32 s1, s1, 8
.LBB24_11:                              ;   in Loop: Header=BB24_6 Depth=1
	s_delay_alu instid0(SALU_CYCLE_1) | instskip(SKIP_4) | instid1(SALU_CYCLE_1)
	s_lshl_b32 s22, 1, s1
	s_add_co_i32 s13, s13, -1
	v_cvt_f32_u32_e32 v10, s22
	s_sub_co_i32 s38, 0, s22
	s_ashr_i32 s56, s13, 31
	s_add_co_i32 s13, s13, s56
	s_delay_alu instid0(VALU_DEP_1) | instskip(SKIP_2) | instid1(TRANS32_DEP_1)
	v_rcp_iflag_f32_e32 v10, v10
	s_xor_b32 s57, s13, s56
	v_nop
	v_mul_f32_e32 v10, 0x4f7ffffe, v10
	s_delay_alu instid0(VALU_DEP_1) | instskip(NEXT) | instid1(VALU_DEP_1)
	v_cvt_u32_f32_e32 v10, v10
	v_readfirstlane_b32 s37, v10
	s_mul_i32 s38, s38, s37
	s_delay_alu instid0(SALU_CYCLE_1) | instskip(NEXT) | instid1(SALU_CYCLE_1)
	s_mul_hi_u32 s38, s37, s38
	s_add_co_i32 s37, s37, s38
	s_delay_alu instid0(SALU_CYCLE_1) | instskip(NEXT) | instid1(SALU_CYCLE_1)
	s_mul_hi_u32 s13, s57, s37
	s_mul_i32 s37, s13, s22
	s_add_co_i32 s38, s13, 1
	s_sub_co_i32 s37, s57, s37
	s_delay_alu instid0(SALU_CYCLE_1)
	s_sub_co_i32 s39, s37, s22
	s_cmp_ge_u32 s37, s22
	s_cselect_b32 s13, s38, s13
	s_cselect_b32 s37, s39, s37
	s_add_co_i32 s38, s13, 1
	s_cmp_ge_u32 s37, s22
	s_cselect_b32 s13, s38, s13
	s_delay_alu instid0(SALU_CYCLE_1) | instskip(NEXT) | instid1(SALU_CYCLE_1)
	s_xor_b32 s13, s13, s56
	s_sub_co_i32 s58, s13, s56
	s_delay_alu instid0(SALU_CYCLE_1) | instskip(NEXT) | instid1(SALU_CYCLE_1)
	s_add_co_i32 s58, s58, 1
	s_lshl_b32 s13, s58, s1
	s_delay_alu instid0(SALU_CYCLE_1) | instskip(SKIP_3) | instid1(SALU_CYCLE_1)
	s_cmp_ge_i32 s33, s13
	s_cselect_b32 s13, -1, 0
	s_cmp_ge_i32 s4, s1
	s_cselect_b32 s22, -1, 0
	s_or_b32 s13, s22, s13
	s_delay_alu instid0(SALU_CYCLE_1)
	s_and_b32 vcc_lo, exec_lo, s13
	s_cbranch_vccnz .LBB24_5
; %bb.12:                               ;   in Loop: Header=BB24_6 Depth=1
	s_abs_i32 s13, s58
	s_ashr_i32 s40, s58, 31
	s_cvt_f32_u32 s22, s13
	s_sub_co_i32 s37, 0, s13
	s_delay_alu instid0(SALU_CYCLE_2) | instskip(SKIP_1) | instid1(TRANS32_DEP_1)
	v_rcp_iflag_f32_e32 v10, s22
	v_nop
	v_readfirstlane_b32 s22, v10
	s_mul_f32 s22, s22, 0x4f7ffffe
	s_delay_alu instid0(SALU_CYCLE_3) | instskip(NEXT) | instid1(SALU_CYCLE_3)
	s_cvt_u32_f32 s22, s22
	s_mul_i32 s37, s37, s22
	s_delay_alu instid0(SALU_CYCLE_1)
	s_mul_hi_u32 s38, s22, s37
	s_ashr_i32 s37, s36, 31
	s_add_co_i32 s22, s22, s38
	s_lshl_b64 s[36:37], s[36:37], 2
	s_mul_u64 s[38:39], s[28:29], s[22:23]
	s_xor_b32 s38, s54, s40
	s_mul_i32 s22, s39, s13
	s_add_co_i32 s40, s39, 1
	s_sub_co_i32 s22, s28, s22
	s_add_nc_u64 s[46:47], s[18:19], s[36:37]
	s_sub_co_i32 s41, s22, s13
	s_cmp_ge_u32 s22, s13
	s_cselect_b32 s39, s40, s39
	s_cselect_b32 s22, s41, s22
	s_add_co_i32 s40, s39, 1
	s_cmp_ge_u32 s22, s13
	v_readfirstlane_b32 s13, v2
	s_cselect_b32 s22, s40, s39
	s_delay_alu instid0(SALU_CYCLE_1) | instskip(NEXT) | instid1(SALU_CYCLE_1)
	s_xor_b32 s22, s22, s38
	s_sub_co_i32 s38, s22, s38
	s_mul_i32 s22, s55, s13
	s_ashr_i32 s39, s38, 31
	s_mul_hi_u32 s22, s13, s22
	s_add_co_i32 s40, s38, s39
	s_add_co_i32 s13, s13, s22
	s_xor_b32 s22, s40, s39
	s_lshl_b64 s[42:43], s[38:39], 2
	s_mul_hi_u32 s13, s22, s13
	s_add_nc_u64 s[40:41], s[46:47], s[42:43]
	s_mul_i32 s13, s13, s51
	s_delay_alu instid0(SALU_CYCLE_1) | instskip(SKIP_4) | instid1(SALU_CYCLE_1)
	s_sub_co_i32 s22, s22, s13
	s_load_b32 s13, s[40:41], 0x8
	s_sub_co_i32 s44, s22, s51
	s_cmp_ge_u32 s22, s51
	s_cselect_b32 s22, s44, s22
	s_sub_co_i32 s44, s22, s51
	s_cmp_ge_u32 s22, s51
	s_cselect_b32 s22, s44, s22
	s_delay_alu instid0(SALU_CYCLE_1) | instskip(NEXT) | instid1(SALU_CYCLE_1)
	s_xor_b32 s22, s22, s39
	s_sub_co_i32 s39, s22, s39
	s_delay_alu instid0(SALU_CYCLE_1)
	s_sub_co_i32 s44, s38, s39
	s_cmp_lt_i32 s39, 1
	s_cbranch_scc1 .LBB24_20
; %bb.13:                               ;   in Loop: Header=BB24_6 Depth=1
	s_cmp_lt_u32 s39, 4
	s_mov_b32 s45, -1
	s_cbranch_scc1 .LBB24_17
; %bb.14:                               ;   in Loop: Header=BB24_6 Depth=1
	s_and_b32 s45, s39, 0x7ffffffc
	s_mov_b32 s22, 0
	s_mov_b32 s59, s45
	s_mov_b32 s48, s44
	s_mov_b32 s60, 0
	s_mov_b32 s61, 0
.LBB24_15:                              ;   Parent Loop BB24_6 Depth=1
                                        ; =>  This Inner Loop Header: Depth=2
	s_ashr_i32 s49, s48, 31
	s_add_co_i32 s59, s59, -4
	s_lshl_b64 s[62:63], s[48:49], 2
	s_add_co_i32 s48, s48, 4
	s_add_nc_u64 s[62:63], s[46:47], s[62:63]
	s_load_b128 s[64:67], s[62:63], 0x8
	s_wait_kmcnt 0x0
	s_add_co_i32 s22, s65, s22
	s_add_co_i32 s13, s64, s13
	;; [unrolled: 1-line block ×4, first 2 shown]
	s_cmp_lg_u32 s59, 0
	s_cbranch_scc1 .LBB24_15
; %bb.16:                               ;   in Loop: Header=BB24_6 Depth=1
	s_add_co_i32 s46, s61, s22
	s_add_co_i32 s13, s60, s13
	s_and_b32 s22, s39, 3
	s_add_co_i32 s13, s13, s46
	s_cmp_lg_u32 s39, s45
	s_cselect_b32 s45, -1, 0
	s_delay_alu instid0(SALU_CYCLE_1)
	s_and_b32 vcc_lo, exec_lo, s45
	s_cbranch_vccnz .LBB24_18
	s_branch .LBB24_20
.LBB24_17:                              ;   in Loop: Header=BB24_6 Depth=1
	s_mov_b32 s22, s39
	s_and_b32 vcc_lo, exec_lo, s45
	s_cbranch_vccz .LBB24_20
.LBB24_18:                              ;   in Loop: Header=BB24_6 Depth=1
	s_add_nc_u64 s[46:47], s[36:37], s[42:43]
	s_lshl_b64 s[48:49], s[22:23], 2
	s_add_co_i32 s22, s22, 1
	s_sub_nc_u64 s[46:47], s[46:47], s[48:49]
	s_delay_alu instid0(SALU_CYCLE_1)
	s_add_nc_u64 s[46:47], s[30:31], s[46:47]
.LBB24_19:                              ;   Parent Loop BB24_6 Depth=1
                                        ; =>  This Inner Loop Header: Depth=2
	s_load_b32 s45, s[46:47], 0x0
	s_add_co_i32 s22, s22, -1
	s_wait_xcnt 0x0
	s_add_nc_u64 s[46:47], s[46:47], 4
	s_wait_kmcnt 0x0
	s_add_co_i32 s13, s45, s13
	s_cmp_lt_u32 s22, 2
	s_cbranch_scc0 .LBB24_19
.LBB24_20:                              ;   in Loop: Header=BB24_6 Depth=1
	s_not_b32 s22, s39
	s_delay_alu instid0(SALU_CYCLE_1) | instskip(NEXT) | instid1(SALU_CYCLE_1)
	s_add_co_i32 s22, s51, s22
	s_cmp_lt_i32 s22, 1
	s_cbranch_scc1 .LBB24_28
; %bb.21:                               ;   in Loop: Header=BB24_6 Depth=1
	s_cmp_lt_u32 s22, 4
	s_mov_b32 s39, -1
	s_cbranch_scc1 .LBB24_25
; %bb.22:                               ;   in Loop: Header=BB24_6 Depth=1
	s_and_b32 s39, s22, 0x7ffffffc
	s_mov_b32 s45, 0
	s_mov_b32 s46, s22
	;; [unrolled: 1-line block ×5, first 2 shown]
.LBB24_23:                              ;   Parent Loop BB24_6 Depth=1
                                        ; =>  This Inner Loop Header: Depth=2
	s_ashr_i32 s47, s46, 31
	s_add_co_i32 s49, s49, -4
	s_lshl_b64 s[60:61], s[46:47], 2
	s_add_co_i32 s46, s46, -4
	s_add_nc_u64 s[60:61], s[40:41], s[60:61]
	s_delay_alu instid0(SALU_CYCLE_1)
	s_add_nc_u64 s[64:65], s[60:61], -4
	s_load_b128 s[60:63], s[64:65], 0x0
	s_wait_kmcnt 0x0
	s_add_co_i32 s45, s62, s45
	s_add_co_i32 s13, s63, s13
	;; [unrolled: 1-line block ×4, first 2 shown]
	s_cmp_lg_u32 s49, 0
	s_cbranch_scc1 .LBB24_23
; %bb.24:                               ;   in Loop: Header=BB24_6 Depth=1
	s_add_co_i32 s45, s59, s45
	s_add_co_i32 s13, s48, s13
	s_and_b32 s46, s22, 3
	s_add_co_i32 s13, s13, s45
	s_cmp_lg_u32 s22, s39
	s_mov_b32 s22, s46
	s_cselect_b32 s39, -1, 0
.LBB24_25:                              ;   in Loop: Header=BB24_6 Depth=1
	s_delay_alu instid0(SALU_CYCLE_1)
	s_and_b32 vcc_lo, exec_lo, s39
	s_cbranch_vccz .LBB24_28
; %bb.26:                               ;   in Loop: Header=BB24_6 Depth=1
	s_add_nc_u64 s[46:47], s[36:37], s[42:43]
	s_lshl_b64 s[48:49], s[22:23], 2
	s_add_co_i32 s22, s22, 1
	s_add_nc_u64 s[46:47], s[46:47], s[48:49]
	s_delay_alu instid0(SALU_CYCLE_1)
	s_add_nc_u64 s[46:47], s[30:31], s[46:47]
.LBB24_27:                              ;   Parent Loop BB24_6 Depth=1
                                        ; =>  This Inner Loop Header: Depth=2
	s_load_b32 s39, s[46:47], 0x0
	s_add_co_i32 s22, s22, -1
	s_wait_xcnt 0x0
	s_add_nc_u64 s[46:47], s[46:47], -4
	s_wait_kmcnt 0x0
	s_add_co_i32 s13, s39, s13
	s_cmp_lt_u32 s22, 2
	s_cbranch_scc0 .LBB24_27
.LBB24_28:                              ;   in Loop: Header=BB24_6 Depth=1
	s_ashr_i32 s45, s44, 31
	s_add_nc_u64 s[46:47], s[20:21], s[36:37]
	s_lshl_b64 s[36:37], s[44:45], 2
	s_add_nc_u64 s[42:43], s[46:47], s[42:43]
	s_add_nc_u64 s[36:37], s[46:47], s[36:37]
	s_clause 0x1
	s_load_b32 s39, s[42:43], 0x8
	s_nop 0
	s_load_b32 s36, s[36:37], 0x8
	s_wait_kmcnt 0x0
	s_ashr_i32 s37, s36, 31
	s_cmp_lt_i32 s13, 1
	s_cbranch_scc1 .LBB24_33
; %bb.29:                               ;   in Loop: Header=BB24_6 Depth=1
	s_cmp_lg_u32 s13, 1
	s_cbranch_scc0 .LBB24_34
; %bb.30:                               ;   in Loop: Header=BB24_6 Depth=1
	s_lshl_b64 s[42:43], s[36:37], 2
	s_and_b32 s22, s13, 0x7ffffffe
	s_add_nc_u64 s[44:45], s[6:7], s[42:43]
	s_mov_b32 s46, 0
	s_mov_b32 s47, s22
	;; [unrolled: 1-line block ×3, first 2 shown]
.LBB24_31:                              ;   Parent Loop BB24_6 Depth=1
                                        ; =>  This Inner Loop Header: Depth=2
	s_load_b64 s[60:61], s[44:45], 0x0
	s_wait_xcnt 0x0
	s_add_nc_u64 s[44:45], s[44:45], 8
	s_wait_kmcnt 0x0
	s_cmp_eq_u32 s60, 1
	s_cselect_b32 s49, -1, 0
	s_cmp_eq_u32 s61, 1
	s_cselect_b32 s59, -1, 0
	s_delay_alu instid0(SALU_CYCLE_1) | instskip(SKIP_4) | instid1(SALU_CYCLE_1)
	s_cmp_lg_u32 s59, 0
	s_add_co_ci_u32 s48, s48, 0
	s_cmp_lg_u32 s49, 0
	s_add_co_ci_u32 s46, s46, 0
	s_add_co_i32 s47, s47, -2
	s_cmp_lg_u32 s47, 0
	s_cbranch_scc1 .LBB24_31
; %bb.32:                               ;   in Loop: Header=BB24_6 Depth=1
	s_add_co_i32 s44, s46, s48
	s_cmp_lg_u32 s13, s22
	s_cselect_b32 s46, -1, 0
	s_mov_b32 s45, s44
	s_branch .LBB24_36
.LBB24_33:                              ;   in Loop: Header=BB24_6 Depth=1
	s_mov_b32 s44, 0
	s_branch .LBB24_40
.LBB24_34:                              ;   in Loop: Header=BB24_6 Depth=1
	s_mov_b32 s46, 0
                                        ; implicit-def: $sgpr44
                                        ; implicit-def: $sgpr42_sgpr43
	s_mov_b32 s45, s44
	s_cbranch_execz .LBB24_36
; %bb.35:                               ;   in Loop: Header=BB24_6 Depth=1
	s_lshl_b64 s[42:43], s[36:37], 2
	s_mov_b32 s46, -1
	s_mov_b32 s45, 0
	s_mov_b32 s22, 0
.LBB24_36:                              ;   in Loop: Header=BB24_6 Depth=1
	s_and_not1_b32 vcc_lo, exec_lo, s46
	s_cbranch_vccnz .LBB24_40
; %bb.37:                               ;   in Loop: Header=BB24_6 Depth=1
	s_lshl_b64 s[46:47], s[22:23], 2
	s_sub_co_i32 s22, s13, s22
	s_add_nc_u64 s[42:43], s[42:43], s[46:47]
	s_delay_alu instid0(SALU_CYCLE_1)
	s_add_nc_u64 s[42:43], s[6:7], s[42:43]
.LBB24_38:                              ;   Parent Loop BB24_6 Depth=1
                                        ; =>  This Inner Loop Header: Depth=2
	s_load_b32 s44, s[42:43], 0x0
	s_wait_xcnt 0x0
	s_add_nc_u64 s[42:43], s[42:43], 4
	s_wait_kmcnt 0x0
	s_cmp_eq_u32 s44, 1
	s_cselect_b32 s44, -1, 0
	s_delay_alu instid0(SALU_CYCLE_1) | instskip(SKIP_2) | instid1(SALU_CYCLE_1)
	s_cmp_lg_u32 s44, 0
	s_add_co_ci_u32 s45, s45, 0
	s_add_co_i32 s22, s22, -1
	s_cmp_eq_u32 s22, 0
	s_cbranch_scc0 .LBB24_38
; %bb.39:                               ;   in Loop: Header=BB24_6 Depth=1
	s_mov_b32 s44, s45
.LBB24_40:                              ;   in Loop: Header=BB24_6 Depth=1
	s_barrier_signal -1
	s_barrier_wait -1
	s_load_b32 s40, s[40:41], 0x8
	s_mul_i32 s22, s38, s58
	s_delay_alu instid0(SALU_CYCLE_1)
	s_sub_co_i32 s22, s33, s22
	s_wait_kmcnt 0x0
	s_cmp_lt_i32 s22, s40
	s_cbranch_scc0 .LBB24_5
; %bb.41:                               ;   in Loop: Header=BB24_6 Depth=1
	s_add_co_i32 s38, s22, s39
	v_cmp_gt_u32_e32 vcc_lo, s44, v0
	s_ashr_i32 s39, s38, 31
	s_delay_alu instid0(SALU_CYCLE_1)
	s_lshl_b64 s[40:41], s[38:39], 2
	s_mov_b32 s39, -1
	s_add_nc_u64 s[40:41], s[24:25], s[40:41]
	s_load_b32 s22, s[40:41], 0x8
	s_wait_kmcnt 0x0
	s_cmp_lg_u32 s22, 1
	s_cbranch_scc1 .LBB24_48
; %bb.42:                               ;   in Loop: Header=BB24_6 Depth=1
	v_mov_b64_e32 v[8:9], 0
	s_and_saveexec_b32 s22, vcc_lo
	s_cbranch_execz .LBB24_46
; %bb.43:                               ;   in Loop: Header=BB24_6 Depth=1
	v_mad_u32 v12, s38, s5, v0
	v_mov_b64_e32 v[8:9], 0
	v_lshl_add_u64 v[10:11], s[36:37], 3, v[4:5]
	s_mov_b64 s[42:43], 0
	s_mov_b32 s39, 0
	s_delay_alu instid0(VALU_DEP_3) | instskip(NEXT) | instid1(VALU_DEP_1)
	v_dual_mov_b32 v14, v0 :: v_dual_ashrrev_i32 v13, 31, v12
	v_lshl_add_u64 v[12:13], v[12:13], 3, s[8:9]
.LBB24_44:                              ;   Parent Loop BB24_6 Depth=1
                                        ; =>  This Inner Loop Header: Depth=2
	v_add_nc_u64_e32 v[16:17], s[42:43], v[10:11]
	s_delay_alu instid0(VALU_DEP_2)
	v_add_nc_u64_e32 v[18:19], s[42:43], v[12:13]
	s_add_nc_u64 s[42:43], s[42:43], s[10:11]
	global_load_b64 v[20:21], v[16:17], off
	global_load_b64 v[22:23], v[18:19], off
	v_add_nc_u32_e32 v14, s50, v14
	s_wait_loadcnt 0x0
	s_wait_xcnt 0x1
	v_div_scale_f64 v[16:17], null, v[22:23], v[22:23], v[20:21]
	v_div_scale_f64 v[28:29], vcc_lo, v[20:21], v[22:23], v[20:21]
	s_delay_alu instid0(VALU_DEP_2) | instskip(SKIP_1) | instid1(TRANS32_DEP_1)
	v_rcp_f64_e32 v[24:25], v[16:17]
	v_nop
	v_fma_f64 v[26:27], -v[16:17], v[24:25], 1.0
	s_delay_alu instid0(VALU_DEP_1) | instskip(NEXT) | instid1(VALU_DEP_1)
	v_fmac_f64_e32 v[24:25], v[24:25], v[26:27]
	v_fma_f64 v[26:27], -v[16:17], v[24:25], 1.0
	s_delay_alu instid0(VALU_DEP_1) | instskip(NEXT) | instid1(VALU_DEP_1)
	v_fmac_f64_e32 v[24:25], v[24:25], v[26:27]
	v_mul_f64_e32 v[26:27], v[28:29], v[24:25]
	s_delay_alu instid0(VALU_DEP_1) | instskip(NEXT) | instid1(VALU_DEP_1)
	v_fma_f64 v[16:17], -v[16:17], v[26:27], v[28:29]
	v_div_fmas_f64 v[16:17], v[16:17], v[24:25], v[26:27]
	v_cmp_le_u32_e32 vcc_lo, s44, v14
	s_or_b32 s39, vcc_lo, s39
	s_delay_alu instid0(VALU_DEP_2) | instskip(NEXT) | instid1(VALU_DEP_1)
	v_div_fixup_f64 v[16:17], v[16:17], v[22:23], v[20:21]
	v_fmac_f64_e32 v[8:9], v[16:17], v[16:17]
	global_store_b64 v[18:19], v[16:17], off
	s_wait_xcnt 0x0
	s_and_not1_b32 exec_lo, exec_lo, s39
	s_cbranch_execnz .LBB24_44
; %bb.45:                               ;   in Loop: Header=BB24_6 Depth=1
	s_or_b32 exec_lo, exec_lo, s39
.LBB24_46:                              ;   in Loop: Header=BB24_6 Depth=1
	s_delay_alu instid0(SALU_CYCLE_1) | instskip(NEXT) | instid1(SALU_CYCLE_1)
	s_or_b32 exec_lo, exec_lo, s22
	s_and_not1_b32 vcc_lo, exec_lo, s53
	s_mov_b32 s22, s50
	ds_store_b64 v1, v[8:9]
	s_wait_storecnt_dscnt 0x0
	s_barrier_signal -1
	s_barrier_wait -1
	s_cbranch_vccz .LBB24_63
.LBB24_47:                              ;   in Loop: Header=BB24_6 Depth=1
	ds_load_b64 v[8:9], v3
	s_wait_dscnt 0x0
	v_cmp_gt_f64_e32 vcc_lo, 0x10000000, v[8:9]
	s_and_b32 s22, vcc_lo, exec_lo
	s_cselect_b32 s22, 0x100, 0
	s_delay_alu instid0(SALU_CYCLE_1) | instskip(SKIP_1) | instid1(VALU_DEP_1)
	v_ldexp_f64 v[8:9], v[8:9], s22
	s_cselect_b32 s22, 0xffffff80, 0
	v_rsq_f64_e32 v[10:11], v[8:9]
	v_cmp_class_f64_e64 vcc_lo, v[8:9], 0x260
	s_delay_alu instid0(TRANS32_DEP_1) | instskip(SKIP_1) | instid1(VALU_DEP_1)
	v_mul_f64_e32 v[12:13], v[8:9], v[10:11]
	v_mul_f64_e32 v[10:11], 0.5, v[10:11]
	v_fma_f64 v[14:15], -v[10:11], v[12:13], 0.5
	s_delay_alu instid0(VALU_DEP_1) | instskip(SKIP_1) | instid1(VALU_DEP_2)
	v_fmac_f64_e32 v[12:13], v[12:13], v[14:15]
	v_fmac_f64_e32 v[10:11], v[10:11], v[14:15]
	v_fma_f64 v[14:15], -v[12:13], v[12:13], v[8:9]
	s_delay_alu instid0(VALU_DEP_1) | instskip(NEXT) | instid1(VALU_DEP_1)
	v_fmac_f64_e32 v[12:13], v[14:15], v[10:11]
	v_fma_f64 v[14:15], -v[12:13], v[12:13], v[8:9]
	s_delay_alu instid0(VALU_DEP_1) | instskip(NEXT) | instid1(VALU_DEP_1)
	v_fmac_f64_e32 v[12:13], v[14:15], v[10:11]
	v_ldexp_f64 v[10:11], v[12:13], s22
	s_load_b32 s22, s[40:41], 0x8
	s_wait_kmcnt 0x0
	s_cmp_lg_u32 s22, 1
	s_cselect_b32 s39, -1, 0
	s_delay_alu instid0(VALU_DEP_1)
	v_dual_cndmask_b32 v9, v11, v9 :: v_dual_cndmask_b32 v8, v10, v8
.LBB24_48:                              ;   in Loop: Header=BB24_6 Depth=1
	s_add_co_i32 s1, s1, s52
	s_delay_alu instid0(SALU_CYCLE_1) | instskip(NEXT) | instid1(SALU_CYCLE_1)
	s_lshl_b32 s1, 1, s1
	s_ashr_i32 s22, s1, 31
	s_delay_alu instid0(SALU_CYCLE_1) | instskip(NEXT) | instid1(SALU_CYCLE_1)
	s_add_co_i32 s1, s1, s22
	s_xor_b32 s1, s1, s22
	s_delay_alu instid0(SALU_CYCLE_1) | instskip(SKIP_1) | instid1(VALU_DEP_1)
	v_cvt_f32_u32_e32 v10, s1
	s_sub_co_i32 s41, 0, s1
	v_rcp_iflag_f32_e32 v10, v10
	v_nop
	s_delay_alu instid0(TRANS32_DEP_1) | instskip(NEXT) | instid1(VALU_DEP_1)
	v_mul_f32_e32 v10, 0x4f7ffffe, v10
	v_cvt_u32_f32_e32 v10, v10
	s_delay_alu instid0(VALU_DEP_1) | instskip(SKIP_1) | instid1(SALU_CYCLE_1)
	v_readfirstlane_b32 s40, v10
	s_mul_i32 s41, s41, s40
	s_mul_hi_u32 s41, s40, s41
	s_delay_alu instid0(SALU_CYCLE_1) | instskip(NEXT) | instid1(SALU_CYCLE_1)
	s_add_co_i32 s40, s40, s41
	s_mul_hi_u32 s40, s57, s40
	s_delay_alu instid0(SALU_CYCLE_1) | instskip(SKIP_2) | instid1(SALU_CYCLE_1)
	s_mul_i32 s41, s40, s1
	s_add_co_i32 s42, s40, 1
	s_sub_co_i32 s41, s57, s41
	s_sub_co_i32 s43, s41, s1
	s_cmp_ge_u32 s41, s1
	s_cselect_b32 s40, s42, s40
	s_cselect_b32 s41, s43, s41
	s_add_co_i32 s42, s40, 1
	s_cmp_ge_u32 s41, s1
	s_cselect_b32 s1, s42, s40
	s_xor_b32 s22, s56, s22
	s_delay_alu instid0(SALU_CYCLE_1) | instskip(NEXT) | instid1(SALU_CYCLE_1)
	s_xor_b32 s1, s1, s22
	s_sub_co_i32 s22, s1, s22
	s_delay_alu instid0(SALU_CYCLE_1) | instskip(SKIP_1) | instid1(SALU_CYCLE_1)
	s_cmp_lt_i32 s22, 0
	s_cselect_b32 s1, -1, 0
	s_or_b32 s1, s39, s1
	s_delay_alu instid0(SALU_CYCLE_1)
	s_and_b32 vcc_lo, exec_lo, s1
	s_cbranch_vccnz .LBB24_5
; %bb.49:                               ;   in Loop: Header=BB24_6 Depth=1
	s_mul_i32 s38, s38, s5
	v_cmp_gt_u32_e64 s1, s44, v0
	v_add_nc_u32_e32 v10, s38, v0
	v_lshl_add_u64 v[12:13], s[36:37], 2, v[6:7]
	s_mov_b32 s37, 0
	s_delay_alu instid0(VALU_DEP_2) | instskip(NEXT) | instid1(VALU_DEP_1)
	v_ashrrev_i32_e32 v11, 31, v10
	v_lshl_add_u64 v[10:11], v[10:11], 3, s[8:9]
	s_branch .LBB24_51
.LBB24_50:                              ;   in Loop: Header=BB24_51 Depth=2
	s_wait_xcnt 0x0
	s_or_b32 exec_lo, exec_lo, s40
	s_add_co_i32 s39, s37, 1
	s_cmp_lg_u32 s37, s22
	s_mov_b32 s37, s39
	s_wait_storecnt 0x0
	s_barrier_signal -1
	s_barrier_wait -1
	s_cbranch_scc0 .LBB24_5
.LBB24_51:                              ;   Parent Loop BB24_6 Depth=1
                                        ; =>  This Loop Header: Depth=2
                                        ;       Child Loop BB24_53 Depth 3
                                        ;       Child Loop BB24_56 Depth 3
	s_add_co_i32 s39, s37, s36
	v_mov_b64_e32 v[14:15], 0
	s_cmp_lt_i32 s37, s13
	s_cselect_b32 s40, -1, 0
	s_delay_alu instid0(SALU_CYCLE_1) | instskip(NEXT) | instid1(SALU_CYCLE_1)
	s_and_b32 s42, s40, s1
	s_and_saveexec_b32 s41, s42
	s_cbranch_execz .LBB24_55
; %bb.52:                               ;   in Loop: Header=BB24_51 Depth=2
	v_mov_b64_e32 v[14:15], 0
	v_mov_b64_e32 v[16:17], v[12:13]
	;; [unrolled: 1-line block ×3, first 2 shown]
	v_mov_b32_e32 v20, v0
	s_mov_b32 s42, 0
.LBB24_53:                              ;   Parent Loop BB24_6 Depth=1
                                        ;     Parent Loop BB24_51 Depth=2
                                        ; =>    This Inner Loop Header: Depth=3
	global_load_b32 v21, v[16:17], off
	s_wait_xcnt 0x0
	v_add_nc_u64_e32 v[16:17], s[34:35], v[16:17]
	v_add_nc_u32_e32 v20, s50, v20
	s_delay_alu instid0(VALU_DEP_1) | instskip(SKIP_3) | instid1(VALU_DEP_1)
	v_cmp_le_u32_e32 vcc_lo, s44, v20
	s_or_b32 s42, vcc_lo, s42
	s_wait_loadcnt 0x0
	v_add_nc_u32_e32 v21, s36, v21
	v_mad_u32 v21, v21, s15, s39
	global_load_b64 v[22:23], v[18:19], off
	global_load_b64 v[24:25], v21, s[2:3] scale_offset
	s_wait_xcnt 0x1
	v_add_nc_u64_e32 v[18:19], s[10:11], v[18:19]
	s_wait_loadcnt 0x0
	v_fmac_f64_e32 v[14:15], v[24:25], v[22:23]
	s_and_not1_b32 exec_lo, exec_lo, s42
	s_cbranch_execnz .LBB24_53
; %bb.54:                               ;   in Loop: Header=BB24_51 Depth=2
	s_or_b32 exec_lo, exec_lo, s42
.LBB24_55:                              ;   in Loop: Header=BB24_51 Depth=2
	s_delay_alu instid0(SALU_CYCLE_1) | instskip(NEXT) | instid1(SALU_CYCLE_1)
	s_or_b32 exec_lo, exec_lo, s41
	s_and_not1_b32 vcc_lo, exec_lo, s53
	s_mov_b32 s41, s50
	ds_store_b64 v1, v[14:15]
	s_wait_dscnt 0x0
	s_barrier_signal -1
	s_barrier_wait -1
	s_cbranch_vccnz .LBB24_60
.LBB24_56:                              ;   Parent Loop BB24_6 Depth=1
                                        ;     Parent Loop BB24_51 Depth=2
                                        ; =>    This Inner Loop Header: Depth=3
	s_lshr_b32 s42, s41, 1
	s_delay_alu instid0(SALU_CYCLE_1) | instskip(SKIP_1) | instid1(SALU_CYCLE_1)
	v_cmp_gt_u32_e32 vcc_lo, s42, v0
	s_and_b32 s45, s40, vcc_lo
	s_and_saveexec_b32 s43, s45
	s_cbranch_execz .LBB24_58
; %bb.57:                               ;   in Loop: Header=BB24_56 Depth=3
	v_lshl_add_u32 v16, s42, 3, v1
	ds_load_b64 v[16:17], v16
	s_wait_dscnt 0x0
	v_add_f64_e32 v[14:15], v[14:15], v[16:17]
	ds_store_b64 v1, v[14:15]
.LBB24_58:                              ;   in Loop: Header=BB24_56 Depth=3
	s_or_b32 exec_lo, exec_lo, s43
	s_cmp_lt_u32 s41, 4
	s_wait_dscnt 0x0
	s_barrier_signal -1
	s_barrier_wait -1
	s_cbranch_scc1 .LBB24_60
; %bb.59:                               ;   in Loop: Header=BB24_56 Depth=3
	s_mov_b32 s41, s42
	s_branch .LBB24_56
.LBB24_60:                              ;   in Loop: Header=BB24_51 Depth=2
	s_and_b32 s41, s0, s40
	s_delay_alu instid0(SALU_CYCLE_1)
	s_and_saveexec_b32 s40, s41
	s_cbranch_execz .LBB24_50
; %bb.61:                               ;   in Loop: Header=BB24_51 Depth=2
	v_div_scale_f64 v[16:17], null, v[8:9], v[8:9], v[14:15]
	s_add_co_i32 s39, s39, s38
	v_rcp_f64_e32 v[18:19], v[16:17]
	v_nop
	s_delay_alu instid0(TRANS32_DEP_1) | instskip(NEXT) | instid1(VALU_DEP_1)
	v_fma_f64 v[20:21], -v[16:17], v[18:19], 1.0
	v_fmac_f64_e32 v[18:19], v[18:19], v[20:21]
	s_delay_alu instid0(VALU_DEP_1) | instskip(NEXT) | instid1(VALU_DEP_1)
	v_fma_f64 v[20:21], -v[16:17], v[18:19], 1.0
	v_fmac_f64_e32 v[18:19], v[18:19], v[20:21]
	v_div_scale_f64 v[20:21], vcc_lo, v[14:15], v[8:9], v[14:15]
	s_delay_alu instid0(VALU_DEP_1) | instskip(NEXT) | instid1(VALU_DEP_1)
	v_mul_f64_e32 v[22:23], v[20:21], v[18:19]
	v_fma_f64 v[16:17], -v[16:17], v[22:23], v[20:21]
	s_delay_alu instid0(VALU_DEP_1) | instskip(NEXT) | instid1(VALU_DEP_1)
	v_div_fmas_f64 v[16:17], v[16:17], v[18:19], v[22:23]
	v_div_fixup_f64 v[14:15], v[16:17], v[8:9], v[14:15]
	v_mov_b32_e32 v16, s39
	global_store_b64 v16, v[14:15], s[26:27] scale_offset
	s_branch .LBB24_50
.LBB24_62:                              ;   in Loop: Header=BB24_63 Depth=2
	s_or_b32 exec_lo, exec_lo, s42
	s_cmp_lt_u32 s22, 4
	s_mov_b32 s22, s39
	s_wait_dscnt 0x0
	s_barrier_signal -1
	s_barrier_wait -1
	s_cbranch_scc1 .LBB24_47
.LBB24_63:                              ;   Parent Loop BB24_6 Depth=1
                                        ; =>  This Inner Loop Header: Depth=2
	s_lshr_b32 s39, s22, 1
	s_mov_b32 s42, exec_lo
	v_cmpx_gt_u32_e64 s39, v0
	s_cbranch_execz .LBB24_62
; %bb.64:                               ;   in Loop: Header=BB24_63 Depth=2
	v_lshl_add_u32 v10, s39, 3, v1
	ds_load_b64 v[10:11], v10
	s_wait_dscnt 0x0
	v_add_f64_e32 v[8:9], v[8:9], v[10:11]
	ds_store_b64 v1, v[8:9]
	s_branch .LBB24_62
.LBB24_65:
	s_endpgm
	.section	.rodata,"a",@progbits
	.p2align	6, 0x0
	.amdhsa_kernel _ZN9rocsolver6v33100L26stedcx_mergeVectors_kernelILb0EdEEviiPT0_lS3_lS3_iilS3_S3_Pi
		.amdhsa_group_segment_fixed_size 0
		.amdhsa_private_segment_fixed_size 0
		.amdhsa_kernarg_size 344
		.amdhsa_user_sgpr_count 2
		.amdhsa_user_sgpr_dispatch_ptr 0
		.amdhsa_user_sgpr_queue_ptr 0
		.amdhsa_user_sgpr_kernarg_segment_ptr 1
		.amdhsa_user_sgpr_dispatch_id 0
		.amdhsa_user_sgpr_kernarg_preload_length 0
		.amdhsa_user_sgpr_kernarg_preload_offset 0
		.amdhsa_user_sgpr_private_segment_size 0
		.amdhsa_wavefront_size32 1
		.amdhsa_uses_dynamic_stack 0
		.amdhsa_enable_private_segment 0
		.amdhsa_system_sgpr_workgroup_id_x 1
		.amdhsa_system_sgpr_workgroup_id_y 1
		.amdhsa_system_sgpr_workgroup_id_z 1
		.amdhsa_system_sgpr_workgroup_info 0
		.amdhsa_system_vgpr_workitem_id 0
		.amdhsa_next_free_vgpr 30
		.amdhsa_next_free_sgpr 68
		.amdhsa_named_barrier_count 0
		.amdhsa_reserve_vcc 1
		.amdhsa_float_round_mode_32 0
		.amdhsa_float_round_mode_16_64 0
		.amdhsa_float_denorm_mode_32 3
		.amdhsa_float_denorm_mode_16_64 3
		.amdhsa_fp16_overflow 0
		.amdhsa_memory_ordered 1
		.amdhsa_forward_progress 1
		.amdhsa_inst_pref_size 25
		.amdhsa_round_robin_scheduling 0
		.amdhsa_exception_fp_ieee_invalid_op 0
		.amdhsa_exception_fp_denorm_src 0
		.amdhsa_exception_fp_ieee_div_zero 0
		.amdhsa_exception_fp_ieee_overflow 0
		.amdhsa_exception_fp_ieee_underflow 0
		.amdhsa_exception_fp_ieee_inexact 0
		.amdhsa_exception_int_div_zero 0
	.end_amdhsa_kernel
	.section	.text._ZN9rocsolver6v33100L26stedcx_mergeVectors_kernelILb0EdEEviiPT0_lS3_lS3_iilS3_S3_Pi,"axG",@progbits,_ZN9rocsolver6v33100L26stedcx_mergeVectors_kernelILb0EdEEviiPT0_lS3_lS3_iilS3_S3_Pi,comdat
.Lfunc_end24:
	.size	_ZN9rocsolver6v33100L26stedcx_mergeVectors_kernelILb0EdEEviiPT0_lS3_lS3_iilS3_S3_Pi, .Lfunc_end24-_ZN9rocsolver6v33100L26stedcx_mergeVectors_kernelILb0EdEEviiPT0_lS3_lS3_iilS3_S3_Pi
                                        ; -- End function
	.set _ZN9rocsolver6v33100L26stedcx_mergeVectors_kernelILb0EdEEviiPT0_lS3_lS3_iilS3_S3_Pi.num_vgpr, 30
	.set _ZN9rocsolver6v33100L26stedcx_mergeVectors_kernelILb0EdEEviiPT0_lS3_lS3_iilS3_S3_Pi.num_agpr, 0
	.set _ZN9rocsolver6v33100L26stedcx_mergeVectors_kernelILb0EdEEviiPT0_lS3_lS3_iilS3_S3_Pi.numbered_sgpr, 68
	.set _ZN9rocsolver6v33100L26stedcx_mergeVectors_kernelILb0EdEEviiPT0_lS3_lS3_iilS3_S3_Pi.num_named_barrier, 0
	.set _ZN9rocsolver6v33100L26stedcx_mergeVectors_kernelILb0EdEEviiPT0_lS3_lS3_iilS3_S3_Pi.private_seg_size, 0
	.set _ZN9rocsolver6v33100L26stedcx_mergeVectors_kernelILb0EdEEviiPT0_lS3_lS3_iilS3_S3_Pi.uses_vcc, 1
	.set _ZN9rocsolver6v33100L26stedcx_mergeVectors_kernelILb0EdEEviiPT0_lS3_lS3_iilS3_S3_Pi.uses_flat_scratch, 0
	.set _ZN9rocsolver6v33100L26stedcx_mergeVectors_kernelILb0EdEEviiPT0_lS3_lS3_iilS3_S3_Pi.has_dyn_sized_stack, 0
	.set _ZN9rocsolver6v33100L26stedcx_mergeVectors_kernelILb0EdEEviiPT0_lS3_lS3_iilS3_S3_Pi.has_recursion, 0
	.set _ZN9rocsolver6v33100L26stedcx_mergeVectors_kernelILb0EdEEviiPT0_lS3_lS3_iilS3_S3_Pi.has_indirect_call, 0
	.section	.AMDGPU.csdata,"",@progbits
; Kernel info:
; codeLenInByte = 3136
; TotalNumSgprs: 70
; NumVgprs: 30
; ScratchSize: 0
; MemoryBound: 0
; FloatMode: 240
; IeeeMode: 1
; LDSByteSize: 0 bytes/workgroup (compile time only)
; SGPRBlocks: 0
; VGPRBlocks: 1
; NumSGPRsForWavesPerEU: 70
; NumVGPRsForWavesPerEU: 30
; NamedBarCnt: 0
; Occupancy: 16
; WaveLimiterHint : 1
; COMPUTE_PGM_RSRC2:SCRATCH_EN: 0
; COMPUTE_PGM_RSRC2:USER_SGPR: 2
; COMPUTE_PGM_RSRC2:TRAP_HANDLER: 0
; COMPUTE_PGM_RSRC2:TGID_X_EN: 1
; COMPUTE_PGM_RSRC2:TGID_Y_EN: 1
; COMPUTE_PGM_RSRC2:TGID_Z_EN: 1
; COMPUTE_PGM_RSRC2:TIDIG_COMP_CNT: 0
	.section	.text._ZN9rocsolver6v33100L25stedcx_mergeUpdate_kernelIdEEviiPT_lS3_iilS3_S3_Pi,"axG",@progbits,_ZN9rocsolver6v33100L25stedcx_mergeUpdate_kernelIdEEviiPT_lS3_iilS3_S3_Pi,comdat
	.globl	_ZN9rocsolver6v33100L25stedcx_mergeUpdate_kernelIdEEviiPT_lS3_iilS3_S3_Pi ; -- Begin function _ZN9rocsolver6v33100L25stedcx_mergeUpdate_kernelIdEEviiPT_lS3_iilS3_S3_Pi
	.p2align	8
	.type	_ZN9rocsolver6v33100L25stedcx_mergeUpdate_kernelIdEEviiPT_lS3_iilS3_S3_Pi,@function
_ZN9rocsolver6v33100L25stedcx_mergeUpdate_kernelIdEEviiPT_lS3_iilS3_S3_Pi: ; @_ZN9rocsolver6v33100L25stedcx_mergeUpdate_kernelIdEEviiPT_lS3_iilS3_S3_Pi
; %bb.0:
	s_clause 0x1
	s_load_b128 s[12:15], s[0:1], 0x18
	s_load_b256 s[4:11], s[0:1], 0x28
	s_bfe_u32 s2, ttmp6, 0x40014
	s_lshr_b32 s3, ttmp7, 16
	s_add_co_i32 s2, s2, 1
	s_bfe_u32 s16, ttmp6, 0x40008
	s_mul_i32 s2, s3, s2
	s_getreg_b32 s20, hwreg(HW_REG_IB_STS2, 6, 4)
	s_add_co_i32 s16, s16, s2
	s_cmp_eq_u32 s20, 0
	s_mov_b32 s23, 0
	s_cselect_b32 s22, s3, s16
	s_wait_kmcnt 0x0
	s_cmp_lg_u64 s[12:13], 0
	s_cbranch_scc0 .LBB25_37
; %bb.1:
	s_mul_u64 s[2:3], s[4:5], s[22:23]
	s_ashr_i32 s5, s14, 31
	s_lshl_b64 s[2:3], s[2:3], 3
	s_mov_b32 s4, s14
	s_add_nc_u64 s[2:3], s[12:13], s[2:3]
	s_lshl_b64 s[4:5], s[4:5], 3
	s_delay_alu instid0(SALU_CYCLE_1)
	s_add_nc_u64 s[2:3], s[2:3], s[4:5]
	s_and_not1_b32 vcc_lo, exec_lo, s23
	s_cbranch_vccnz .LBB25_3
.LBB25_2:
	s_mov_b32 s23, 0
                                        ; implicit-def: $sgpr2_sgpr3
.LBB25_3:
	s_load_b64 s[4:5], s[0:1], 0x0
	s_bfe_u32 s12, ttmp6, 0x40010
	s_and_b32 s13, ttmp7, 0xffff
	s_add_co_i32 s12, s12, 1
	s_bfe_u32 s14, ttmp6, 0x40004
	s_mul_i32 s12, s13, s12
	s_mov_b32 s21, 0
	s_add_co_i32 s14, s14, s12
	s_cmp_eq_u32 s20, 0
	s_cselect_b32 s12, s13, s14
	s_wait_kmcnt 0x0
	s_mul_i32 s16, s5, 5
	s_ashr_i32 s25, s5, 31
	s_add_co_i32 s13, s16, 2
	s_mov_b32 s24, s5
	s_mul_i32 s16, s13, s22
	s_lshl_b64 s[34:35], s[24:25], 2
	s_ashr_i32 s17, s16, 31
	s_delay_alu instid0(SALU_CYCLE_1) | instskip(NEXT) | instid1(SALU_CYCLE_1)
	s_lshl_b64 s[30:31], s[16:17], 2
	s_add_nc_u64 s[16:17], s[10:11], s[30:31]
	s_delay_alu instid0(SALU_CYCLE_1)
	s_add_nc_u64 s[18:19], s[16:17], s[34:35]
	s_load_b32 s14, s[18:19], 0x4
	s_wait_kmcnt 0x0
	s_cmp_ge_i32 s12, s14
	s_cbranch_scc1 .LBB25_36
; %bb.4:
	s_clause 0x1
	s_load_b128 s[36:39], s[0:1], 0x8
	s_load_b32 s13, s[0:1], 0x54
	s_wait_xcnt 0x0
	s_mul_i32 s0, s22, s5
	s_bfe_u32 s1, ttmp6, 0x4000c
	s_lshl_b32 s0, s0, 1
	s_lshl_b64 s[26:27], s[24:25], 3
	s_add_co_i32 s25, s1, 1
	s_ashr_i32 s1, s0, 31
	s_and_b32 s24, ttmp6, 15
	s_mul_i32 s40, s0, s5
	s_mul_i32 s25, ttmp9, s25
	s_lshl_b64 s[28:29], s[0:1], 3
	s_ashr_i32 s41, s40, 31
	s_add_co_i32 s24, s24, s25
	s_add_nc_u64 s[30:31], s[34:35], s[30:31]
	s_add_nc_u64 s[28:29], s[6:7], s[28:29]
	;; [unrolled: 1-line block ×4, first 2 shown]
	s_mov_b32 s29, s21
	s_add_nc_u64 s[10:11], s[10:11], 8
	s_wait_kmcnt 0x0
	s_mul_u64 s[0:1], s[38:39], s[22:23]
	s_mov_b32 s31, s21
	s_lshl_b64 s[0:1], s[0:1], 3
	s_cmp_eq_u32 s20, 0
	s_add_nc_u64 s[22:23], s[36:37], s[0:1]
	s_cselect_b32 s1, ttmp9, s24
	s_lshl_b32 s33, 2, s4
	s_add_nc_u64 s[24:25], s[18:19], s[34:35]
	v_cvt_f32_u32_e32 v1, s33
	v_cmp_eq_u32_e64 s0, 0, v0
	s_add_nc_u64 s[6:7], s[24:25], s[34:35]
	s_and_b32 s44, 0xffff, s13
	s_lshl_b64 s[34:35], s[40:41], 3
	v_rcp_iflag_f32_e32 v1, v1
	s_ashr_i32 s45, s1, 31
	s_abs_i32 s28, s1
	s_lshl_b32 s30, s44, 3
	s_add_nc_u64 s[8:9], s[8:9], s[34:35]
	s_sub_co_i32 s46, 0, s33
	v_nop
	v_dual_mul_f32 v2, 0x4f7ffffe, v1 :: v_dual_mov_b32 v1, 0
	s_delay_alu instid0(VALU_DEP_1)
	v_cvt_u32_f32_e32 v6, v2
	s_branch .LBB25_7
.LBB25_5:                               ;   in Loop: Header=BB25_7 Depth=1
	s_or_b32 exec_lo, exec_lo, s13
.LBB25_6:                               ;   in Loop: Header=BB25_7 Depth=1
	s_add_co_i32 s12, s12, 8
	s_delay_alu instid0(SALU_CYCLE_1)
	s_cmp_ge_i32 s12, s14
	s_cbranch_scc1 .LBB25_36
.LBB25_7:                               ; =>This Loop Header: Depth=1
                                        ;     Child Loop BB25_16 Depth 2
                                        ;     Child Loop BB25_20 Depth 2
	;; [unrolled: 1-line block ×5, first 2 shown]
	s_ashr_i32 s13, s12, 31
	s_delay_alu instid0(SALU_CYCLE_1)
	s_lshl_b64 s[34:35], s[12:13], 2
	s_barrier_signal -1
	s_add_nc_u64 s[34:35], s[16:17], s[34:35]
	s_barrier_wait -1
	s_wait_loadcnt 0x0
	global_load_b64 v[2:3], v1, s[34:35]
	s_mov_b32 s20, 0
	s_wait_loadcnt 0x0
	s_wait_xcnt 0x0
	v_readfirstlane_b32 s34, v2
	v_readfirstlane_b32 s13, v3
	s_sub_co_i32 s13, s13, s34
	s_delay_alu instid0(SALU_CYCLE_1)
	s_cmp_lt_i32 s13, 3
	s_cbranch_scc1 .LBB25_12
; %bb.8:                                ;   in Loop: Header=BB25_7 Depth=1
	s_cmp_lt_u32 s13, 5
	s_mov_b32 s20, 1
	s_cbranch_scc1 .LBB25_12
; %bb.9:                                ;   in Loop: Header=BB25_7 Depth=1
	s_cmp_lt_u32 s13, 33
	s_mov_b32 s20, 2
	s_cbranch_scc1 .LBB25_12
; %bb.10:                               ;   in Loop: Header=BB25_7 Depth=1
	s_cmp_lt_u32 s13, 0xe9
	s_mov_b32 s20, 4
	s_cbranch_scc1 .LBB25_12
; %bb.11:                               ;   in Loop: Header=BB25_7 Depth=1
	s_cmp_lt_u32 s13, 0x128
	s_cselect_b32 s20, 5, 7
	s_cmp_lt_u32 s13, 0x79b
	s_cselect_b32 s20, s20, 8
.LBB25_12:                              ;   in Loop: Header=BB25_7 Depth=1
	s_delay_alu instid0(SALU_CYCLE_1) | instskip(SKIP_4) | instid1(SALU_CYCLE_1)
	s_lshl_b32 s35, 1, s20
	s_add_co_i32 s13, s13, -1
	v_cvt_f32_u32_e32 v2, s35
	s_sub_co_i32 s37, 0, s35
	s_ashr_i32 s38, s13, 31
	s_add_co_i32 s13, s13, s38
	s_delay_alu instid0(VALU_DEP_1) | instskip(SKIP_2) | instid1(TRANS32_DEP_1)
	v_rcp_iflag_f32_e32 v2, v2
	s_xor_b32 s13, s13, s38
	v_nop
	v_mul_f32_e32 v2, 0x4f7ffffe, v2
	s_delay_alu instid0(VALU_DEP_1) | instskip(NEXT) | instid1(VALU_DEP_1)
	v_cvt_u32_f32_e32 v2, v2
	v_readfirstlane_b32 s36, v2
	s_mul_i32 s37, s37, s36
	s_delay_alu instid0(SALU_CYCLE_1) | instskip(NEXT) | instid1(SALU_CYCLE_1)
	s_mul_hi_u32 s37, s36, s37
	s_add_co_i32 s36, s36, s37
	s_delay_alu instid0(SALU_CYCLE_1) | instskip(NEXT) | instid1(SALU_CYCLE_1)
	s_mul_hi_u32 s36, s13, s36
	s_mul_i32 s37, s36, s35
	s_delay_alu instid0(SALU_CYCLE_1)
	s_sub_co_i32 s13, s13, s37
	s_add_co_i32 s37, s36, 1
	s_sub_co_i32 s39, s13, s35
	s_cmp_ge_u32 s13, s35
	s_cselect_b32 s36, s37, s36
	s_cselect_b32 s13, s39, s13
	s_add_co_i32 s37, s36, 1
	s_cmp_ge_u32 s13, s35
	s_cselect_b32 s13, s37, s36
	s_delay_alu instid0(SALU_CYCLE_1) | instskip(NEXT) | instid1(SALU_CYCLE_1)
	s_xor_b32 s13, s13, s38
	s_sub_co_i32 s13, s13, s38
	s_delay_alu instid0(SALU_CYCLE_1) | instskip(NEXT) | instid1(SALU_CYCLE_1)
	s_add_co_i32 s13, s13, 1
	s_lshl_b32 s35, s13, s20
	s_delay_alu instid0(SALU_CYCLE_1) | instskip(SKIP_3) | instid1(SALU_CYCLE_1)
	s_cmp_ge_i32 s1, s35
	s_cselect_b32 s35, -1, 0
	s_cmp_ge_i32 s4, s20
	s_cselect_b32 s20, -1, 0
	s_or_b32 s20, s20, s35
	s_delay_alu instid0(SALU_CYCLE_1)
	s_and_b32 vcc_lo, exec_lo, s20
	s_cbranch_vccnz .LBB25_6
; %bb.13:                               ;   in Loop: Header=BB25_7 Depth=1
	s_abs_i32 s40, s13
	s_ashr_i32 s41, s13, 31
	s_cvt_f32_u32 s20, s40
	s_sub_co_i32 s35, 0, s40
	s_delay_alu instid0(SALU_CYCLE_2) | instskip(SKIP_1) | instid1(TRANS32_DEP_1)
	v_rcp_iflag_f32_e32 v2, s20
	v_nop
	v_readfirstlane_b32 s20, v2
	s_mul_f32 s20, s20, 0x4f7ffffe
	s_delay_alu instid0(SALU_CYCLE_3) | instskip(NEXT) | instid1(SALU_CYCLE_3)
	s_cvt_u32_f32 s20, s20
	s_mul_i32 s35, s35, s20
	s_delay_alu instid0(SALU_CYCLE_1)
	s_mul_hi_u32 s36, s20, s35
	s_ashr_i32 s35, s34, 31
	s_add_co_i32 s20, s20, s36
	s_lshl_b64 s[36:37], s[34:35], 2
	s_mul_u64 s[38:39], s[28:29], s[20:21]
	s_xor_b32 s34, s45, s41
	s_mul_i32 s20, s39, s40
	s_add_co_i32 s35, s39, 1
	s_sub_co_i32 s20, s28, s20
	s_add_nc_u64 s[48:49], s[24:25], s[36:37]
	s_sub_co_i32 s38, s20, s40
	s_cmp_ge_u32 s20, s40
	s_cselect_b32 s35, s35, s39
	s_cselect_b32 s20, s38, s20
	s_add_co_i32 s38, s35, 1
	s_cmp_ge_u32 s20, s40
	v_readfirstlane_b32 s20, v6
	s_cselect_b32 s35, s38, s35
	s_delay_alu instid0(SALU_CYCLE_1)
	s_xor_b32 s35, s35, s34
	s_mul_i32 s38, s46, s20
	s_sub_co_i32 s34, s35, s34
	s_mul_hi_u32 s38, s20, s38
	s_ashr_i32 s35, s34, 31
	s_add_co_i32 s20, s20, s38
	s_add_co_i32 s39, s34, s35
	v_mov_b32_e32 v7, s34
	s_xor_b32 s38, s39, s35
	s_delay_alu instid0(SALU_CYCLE_1) | instskip(NEXT) | instid1(SALU_CYCLE_1)
	s_mul_hi_u32 s20, s38, s20
	s_mul_i32 s20, s20, s33
	s_delay_alu instid0(SALU_CYCLE_1) | instskip(SKIP_4) | instid1(SALU_CYCLE_1)
	s_sub_co_i32 s20, s38, s20
	s_lshl_b64 s[38:39], s[34:35], 2
	s_sub_co_i32 s40, s20, s33
	s_cmp_ge_u32 s20, s33
	s_cselect_b32 s20, s40, s20
	s_sub_co_i32 s40, s20, s33
	s_cmp_ge_u32 s20, s33
	s_cselect_b32 s20, s40, s20
	s_add_nc_u64 s[40:41], s[18:19], s[36:37]
	s_xor_b32 s20, s20, s35
	s_delay_alu instid0(SALU_CYCLE_1) | instskip(NEXT) | instid1(SALU_CYCLE_1)
	s_sub_co_i32 s35, s20, s35
	s_sub_co_i32 s42, s34, s35
	s_cmp_lt_i32 s35, 1
	v_mov_b32_e32 v5, s42
	s_clause 0x2
	global_load_b32 v4, v5, s[48:49] offset:8 scale_offset
	global_load_b32 v3, v7, s[40:41] offset:8 scale_offset
	;; [unrolled: 1-line block ×3, first 2 shown]
	s_wait_loadcnt 0x1
	s_wait_xcnt 0x2
	v_mov_b32_e32 v5, v3
	s_cbranch_scc1 .LBB25_21
; %bb.14:                               ;   in Loop: Header=BB25_7 Depth=1
	s_cmp_lt_u32 s35, 4
	s_cbranch_scc1 .LBB25_18
; %bb.15:                               ;   in Loop: Header=BB25_7 Depth=1
	v_dual_mov_b32 v5, 0 :: v_dual_mov_b32 v8, 0
	s_wait_xcnt 0x0
	v_dual_mov_b32 v7, 0 :: v_dual_mov_b32 v9, v3
	s_and_b32 s47, s35, 0x7ffffffc
	s_delay_alu instid0(SALU_CYCLE_1)
	s_mov_b32 s20, s47
.LBB25_16:                              ;   Parent Loop BB25_7 Depth=1
                                        ; =>  This Inner Loop Header: Depth=2
	s_ashr_i32 s43, s42, 31
	s_add_co_i32 s20, s20, -4
	s_wait_xcnt 0x0
	s_lshl_b64 s[48:49], s[42:43], 2
	s_add_co_i32 s42, s42, 4
	s_add_nc_u64 s[48:49], s[40:41], s[48:49]
	s_cmp_lg_u32 s20, 0
	global_load_b128 v[10:13], v1, s[48:49] offset:8
	s_wait_loadcnt 0x0
	v_dual_add_nc_u32 v5, v11, v5 :: v_dual_add_nc_u32 v8, v13, v8
	v_dual_add_nc_u32 v9, v10, v9 :: v_dual_add_nc_u32 v7, v12, v7
	s_cbranch_scc1 .LBB25_16
; %bb.17:                               ;   in Loop: Header=BB25_7 Depth=1
	s_delay_alu instid0(VALU_DEP_2) | instskip(NEXT) | instid1(VALU_DEP_2)
	v_add_nc_u32_e32 v5, v8, v5
	v_add_nc_u32_e32 v7, v7, v9
	s_and_b32 s20, s35, 3
	s_cmp_lg_u32 s35, s47
	s_cselect_b32 s42, -1, 0
	s_delay_alu instid0(VALU_DEP_1)
	v_add_nc_u32_e32 v5, v7, v5
	s_and_b32 vcc_lo, exec_lo, s42
	s_cbranch_vccnz .LBB25_19
	s_branch .LBB25_21
.LBB25_18:                              ;   in Loop: Header=BB25_7 Depth=1
	v_mov_b32_e32 v5, v3
	s_mov_b32 s20, s35
	s_cbranch_execz .LBB25_21
.LBB25_19:                              ;   in Loop: Header=BB25_7 Depth=1
	s_add_nc_u64 s[42:43], s[36:37], s[38:39]
	s_wait_xcnt 0x0
	s_lshl_b64 s[48:49], s[20:21], 2
	s_add_co_i32 s20, s20, 1
	s_sub_nc_u64 s[42:43], s[42:43], s[48:49]
	s_delay_alu instid0(SALU_CYCLE_1)
	s_add_nc_u64 s[42:43], s[10:11], s[42:43]
.LBB25_20:                              ;   Parent Loop BB25_7 Depth=1
                                        ; =>  This Inner Loop Header: Depth=2
	global_load_b32 v7, v1, s[42:43]
	s_add_co_i32 s20, s20, -1
	s_wait_xcnt 0x0
	s_add_nc_u64 s[42:43], s[42:43], 4
	s_cmp_lt_u32 s20, 2
	s_wait_loadcnt 0x0
	v_add_nc_u32_e32 v5, v7, v5
	s_cbranch_scc0 .LBB25_20
.LBB25_21:                              ;   in Loop: Header=BB25_7 Depth=1
	s_not_b32 s20, s35
	s_delay_alu instid0(SALU_CYCLE_1) | instskip(NEXT) | instid1(SALU_CYCLE_1)
	s_add_co_i32 s20, s33, s20
	s_cmp_lt_i32 s20, 1
	s_cbranch_scc1 .LBB25_29
; %bb.22:                               ;   in Loop: Header=BB25_7 Depth=1
	s_cmp_lt_u32 s20, 4
	s_cbranch_scc1 .LBB25_26
; %bb.23:                               ;   in Loop: Header=BB25_7 Depth=1
	s_wait_xcnt 0x0
	v_dual_mov_b32 v7, 0 :: v_dual_mov_b32 v9, 0
	v_mov_b32_e32 v8, 0
	s_and_b32 s35, s20, 0x7ffffffc
	s_add_nc_u64 s[40:41], s[40:41], s[38:39]
	s_mov_b32 s42, s20
	s_mov_b32 s47, s35
.LBB25_24:                              ;   Parent Loop BB25_7 Depth=1
                                        ; =>  This Inner Loop Header: Depth=2
	s_ashr_i32 s43, s42, 31
	s_add_co_i32 s47, s47, -4
	s_wait_xcnt 0x0
	s_lshl_b64 s[48:49], s[42:43], 2
	s_add_co_i32 s42, s42, -4
	s_add_nc_u64 s[48:49], s[40:41], s[48:49]
	s_cmp_lg_u32 s47, 0
	global_load_b128 v[10:13], v1, s[48:49] offset:-4
	s_wait_loadcnt 0x0
	v_dual_add_nc_u32 v7, v12, v7 :: v_dual_add_nc_u32 v5, v13, v5
	v_dual_add_nc_u32 v9, v10, v9 :: v_dual_add_nc_u32 v8, v11, v8
	s_cbranch_scc1 .LBB25_24
; %bb.25:                               ;   in Loop: Header=BB25_7 Depth=1
	s_delay_alu instid0(VALU_DEP_1)
	v_dual_add_nc_u32 v7, v9, v7 :: v_dual_add_nc_u32 v5, v8, v5
	s_and_b32 s40, s20, 3
	s_cmp_lg_u32 s20, s35
	s_mov_b32 s20, s40
	s_cselect_b32 s35, -1, 0
	v_add_nc_u32_e32 v5, v5, v7
	s_and_b32 vcc_lo, exec_lo, s35
	s_cbranch_vccnz .LBB25_27
	s_branch .LBB25_29
.LBB25_26:                              ;   in Loop: Header=BB25_7 Depth=1
	s_cbranch_execz .LBB25_29
.LBB25_27:                              ;   in Loop: Header=BB25_7 Depth=1
	s_add_nc_u64 s[36:37], s[36:37], s[38:39]
	s_lshl_b64 s[38:39], s[20:21], 2
	s_add_co_i32 s20, s20, 1
	s_add_nc_u64 s[36:37], s[36:37], s[38:39]
	s_delay_alu instid0(SALU_CYCLE_1)
	s_add_nc_u64 s[36:37], s[10:11], s[36:37]
.LBB25_28:                              ;   Parent Loop BB25_7 Depth=1
                                        ; =>  This Inner Loop Header: Depth=2
	global_load_b32 v7, v1, s[36:37]
	s_add_co_i32 s20, s20, -1
	s_wait_xcnt 0x0
	s_add_nc_u64 s[36:37], s[36:37], -4
	s_cmp_lt_u32 s20, 2
	s_wait_loadcnt 0x0
	v_add_nc_u32_e32 v5, v7, v5
	s_cbranch_scc0 .LBB25_28
.LBB25_29:                              ;   in Loop: Header=BB25_7 Depth=1
	s_mul_i32 s13, s34, s13
	s_delay_alu instid0(SALU_CYCLE_1) | instskip(NEXT) | instid1(SALU_CYCLE_1)
	s_sub_co_i32 s13, s1, s13
	v_cmp_lt_i32_e32 vcc_lo, s13, v3
	s_cbranch_vccz .LBB25_6
; %bb.30:                               ;   in Loop: Header=BB25_7 Depth=1
	s_wait_loadcnt 0x0
	v_add_nc_u32_e32 v2, s13, v2
	global_load_b32 v3, v2, s[6:7] offset:8 scale_offset
	s_wait_loadcnt 0x0
	v_cmp_ne_u32_e32 vcc_lo, 1, v3
	s_cbranch_vccnz .LBB25_6
; %bb.31:                               ;   in Loop: Header=BB25_7 Depth=1
	v_ashrrev_i32_e32 v3, 31, v2
	s_wait_xcnt 0x0
	s_and_saveexec_b32 s13, s0
	s_cbranch_execz .LBB25_33
; %bb.32:                               ;   in Loop: Header=BB25_7 Depth=1
	s_delay_alu instid0(VALU_DEP_1) | instskip(NEXT) | instid1(VALU_DEP_1)
	v_lshlrev_b64_e32 v[8:9], 3, v[2:3]
	v_add_nc_u64_e32 v[10:11], s[26:27], v[8:9]
	v_add_nc_u64_e32 v[8:9], s[22:23], v[8:9]
	global_load_b64 v[10:11], v[10:11], off
	s_wait_loadcnt 0x0
	global_store_b64 v[8:9], v[10:11], off
.LBB25_33:                              ;   in Loop: Header=BB25_7 Depth=1
	s_wait_xcnt 0x0
	s_or_b32 exec_lo, exec_lo, s13
	s_delay_alu instid0(SALU_CYCLE_1)
	s_mov_b32 s13, exec_lo
	v_cmpx_lt_i32_e64 v0, v5
	s_cbranch_execz .LBB25_5
; %bb.34:                               ;   in Loop: Header=BB25_7 Depth=1
	v_add_nc_u32_e32 v7, v4, v0
	v_add_nc_u32_e32 v8, v5, v4
	s_mov_b64 s[34:35], 0
	s_mov_b32 s20, 0
	s_delay_alu instid0(VALU_DEP_2) | instskip(NEXT) | instid1(VALU_DEP_1)
	v_mad_u32 v10, v2, s15, v7
	v_ashrrev_i32_e32 v11, 31, v10
	v_mad_u32 v12, v2, s5, v7
	s_delay_alu instid0(VALU_DEP_2) | instskip(NEXT) | instid1(VALU_DEP_2)
	v_lshl_add_u64 v[2:3], v[10:11], 3, s[2:3]
	v_ashrrev_i32_e32 v13, 31, v12
	s_delay_alu instid0(VALU_DEP_1)
	v_lshl_add_u64 v[4:5], v[12:13], 3, s[8:9]
.LBB25_35:                              ;   Parent Loop BB25_7 Depth=1
                                        ; =>  This Inner Loop Header: Depth=2
	s_delay_alu instid0(VALU_DEP_1) | instskip(SKIP_3) | instid1(VALU_DEP_2)
	v_add_nc_u64_e32 v[10:11], s[34:35], v[4:5]
	v_add_nc_u32_e32 v7, s44, v7
	v_add_nc_u64_e32 v[12:13], s[34:35], v[2:3]
	s_add_nc_u64 s[34:35], s[34:35], s[30:31]
	v_cmp_ge_i32_e32 vcc_lo, v7, v8
	global_load_b64 v[10:11], v[10:11], off
	s_or_b32 s20, vcc_lo, s20
	s_wait_loadcnt 0x0
	global_store_b64 v[12:13], v[10:11], off
	s_wait_xcnt 0x0
	s_and_not1_b32 exec_lo, exec_lo, s20
	s_cbranch_execnz .LBB25_35
	s_branch .LBB25_5
.LBB25_36:
	s_endpgm
.LBB25_37:
	s_mov_b32 s23, -1
                                        ; implicit-def: $sgpr2_sgpr3
	s_branch .LBB25_2
	.section	.rodata,"a",@progbits
	.p2align	6, 0x0
	.amdhsa_kernel _ZN9rocsolver6v33100L25stedcx_mergeUpdate_kernelIdEEviiPT_lS3_iilS3_S3_Pi
		.amdhsa_group_segment_fixed_size 0
		.amdhsa_private_segment_fixed_size 0
		.amdhsa_kernarg_size 328
		.amdhsa_user_sgpr_count 2
		.amdhsa_user_sgpr_dispatch_ptr 0
		.amdhsa_user_sgpr_queue_ptr 0
		.amdhsa_user_sgpr_kernarg_segment_ptr 1
		.amdhsa_user_sgpr_dispatch_id 0
		.amdhsa_user_sgpr_kernarg_preload_length 0
		.amdhsa_user_sgpr_kernarg_preload_offset 0
		.amdhsa_user_sgpr_private_segment_size 0
		.amdhsa_wavefront_size32 1
		.amdhsa_uses_dynamic_stack 0
		.amdhsa_enable_private_segment 0
		.amdhsa_system_sgpr_workgroup_id_x 1
		.amdhsa_system_sgpr_workgroup_id_y 1
		.amdhsa_system_sgpr_workgroup_id_z 1
		.amdhsa_system_sgpr_workgroup_info 0
		.amdhsa_system_vgpr_workitem_id 0
		.amdhsa_next_free_vgpr 14
		.amdhsa_next_free_sgpr 50
		.amdhsa_named_barrier_count 0
		.amdhsa_reserve_vcc 1
		.amdhsa_float_round_mode_32 0
		.amdhsa_float_round_mode_16_64 0
		.amdhsa_float_denorm_mode_32 3
		.amdhsa_float_denorm_mode_16_64 3
		.amdhsa_fp16_overflow 0
		.amdhsa_memory_ordered 1
		.amdhsa_forward_progress 1
		.amdhsa_inst_pref_size 15
		.amdhsa_round_robin_scheduling 0
		.amdhsa_exception_fp_ieee_invalid_op 0
		.amdhsa_exception_fp_denorm_src 0
		.amdhsa_exception_fp_ieee_div_zero 0
		.amdhsa_exception_fp_ieee_overflow 0
		.amdhsa_exception_fp_ieee_underflow 0
		.amdhsa_exception_fp_ieee_inexact 0
		.amdhsa_exception_int_div_zero 0
	.end_amdhsa_kernel
	.section	.text._ZN9rocsolver6v33100L25stedcx_mergeUpdate_kernelIdEEviiPT_lS3_iilS3_S3_Pi,"axG",@progbits,_ZN9rocsolver6v33100L25stedcx_mergeUpdate_kernelIdEEviiPT_lS3_iilS3_S3_Pi,comdat
.Lfunc_end25:
	.size	_ZN9rocsolver6v33100L25stedcx_mergeUpdate_kernelIdEEviiPT_lS3_iilS3_S3_Pi, .Lfunc_end25-_ZN9rocsolver6v33100L25stedcx_mergeUpdate_kernelIdEEviiPT_lS3_iilS3_S3_Pi
                                        ; -- End function
	.set _ZN9rocsolver6v33100L25stedcx_mergeUpdate_kernelIdEEviiPT_lS3_iilS3_S3_Pi.num_vgpr, 14
	.set _ZN9rocsolver6v33100L25stedcx_mergeUpdate_kernelIdEEviiPT_lS3_iilS3_S3_Pi.num_agpr, 0
	.set _ZN9rocsolver6v33100L25stedcx_mergeUpdate_kernelIdEEviiPT_lS3_iilS3_S3_Pi.numbered_sgpr, 50
	.set _ZN9rocsolver6v33100L25stedcx_mergeUpdate_kernelIdEEviiPT_lS3_iilS3_S3_Pi.num_named_barrier, 0
	.set _ZN9rocsolver6v33100L25stedcx_mergeUpdate_kernelIdEEviiPT_lS3_iilS3_S3_Pi.private_seg_size, 0
	.set _ZN9rocsolver6v33100L25stedcx_mergeUpdate_kernelIdEEviiPT_lS3_iilS3_S3_Pi.uses_vcc, 1
	.set _ZN9rocsolver6v33100L25stedcx_mergeUpdate_kernelIdEEviiPT_lS3_iilS3_S3_Pi.uses_flat_scratch, 0
	.set _ZN9rocsolver6v33100L25stedcx_mergeUpdate_kernelIdEEviiPT_lS3_iilS3_S3_Pi.has_dyn_sized_stack, 0
	.set _ZN9rocsolver6v33100L25stedcx_mergeUpdate_kernelIdEEviiPT_lS3_iilS3_S3_Pi.has_recursion, 0
	.set _ZN9rocsolver6v33100L25stedcx_mergeUpdate_kernelIdEEviiPT_lS3_iilS3_S3_Pi.has_indirect_call, 0
	.section	.AMDGPU.csdata,"",@progbits
; Kernel info:
; codeLenInByte = 1912
; TotalNumSgprs: 52
; NumVgprs: 14
; ScratchSize: 0
; MemoryBound: 0
; FloatMode: 240
; IeeeMode: 1
; LDSByteSize: 0 bytes/workgroup (compile time only)
; SGPRBlocks: 0
; VGPRBlocks: 0
; NumSGPRsForWavesPerEU: 52
; NumVGPRsForWavesPerEU: 14
; NamedBarCnt: 0
; Occupancy: 16
; WaveLimiterHint : 1
; COMPUTE_PGM_RSRC2:SCRATCH_EN: 0
; COMPUTE_PGM_RSRC2:USER_SGPR: 2
; COMPUTE_PGM_RSRC2:TRAP_HANDLER: 0
; COMPUTE_PGM_RSRC2:TGID_X_EN: 1
; COMPUTE_PGM_RSRC2:TGID_Y_EN: 1
; COMPUTE_PGM_RSRC2:TGID_Z_EN: 1
; COMPUTE_PGM_RSRC2:TIDIG_COMP_CNT: 0
	.section	.text._ZN9rocsolver6v33100L23stedcx_synthesis_kernelIdEEv15rocblas_erange_iiiPT_lPiS4_lS4_iliS5_S4_S3_,"axG",@progbits,_ZN9rocsolver6v33100L23stedcx_synthesis_kernelIdEEv15rocblas_erange_iiiPT_lPiS4_lS4_iliS5_S4_S3_,comdat
	.globl	_ZN9rocsolver6v33100L23stedcx_synthesis_kernelIdEEv15rocblas_erange_iiiPT_lPiS4_lS4_iliS5_S4_S3_ ; -- Begin function _ZN9rocsolver6v33100L23stedcx_synthesis_kernelIdEEv15rocblas_erange_iiiPT_lPiS4_lS4_iliS5_S4_S3_
	.p2align	8
	.type	_ZN9rocsolver6v33100L23stedcx_synthesis_kernelIdEEv15rocblas_erange_iiiPT_lPiS4_lS4_iliS5_S4_S3_,@function
_ZN9rocsolver6v33100L23stedcx_synthesis_kernelIdEEv15rocblas_erange_iiiPT_lPiS4_lS4_iliS5_S4_S3_: ; @_ZN9rocsolver6v33100L23stedcx_synthesis_kernelIdEEv15rocblas_erange_iiiPT_lPiS4_lS4_iliS5_S4_S3_
; %bb.0:
	s_clause 0x3
	s_load_b128 s[4:7], s[0:1], 0x0
	s_load_b32 s20, s[0:1], 0x7c
	s_load_b256 s[12:19], s[0:1], 0x10
	s_load_b128 s[8:11], s[0:1], 0x30
	s_bfe_u32 s2, ttmp6, 0x40010
	s_bfe_u32 s3, ttmp6, 0x40004
	s_add_co_i32 s2, s2, 1
	s_getreg_b32 s21, hwreg(HW_REG_IB_STS2, 6, 4)
	s_mul_i32 s2, ttmp7, s2
	s_delay_alu instid0(SALU_CYCLE_1) | instskip(SKIP_2) | instid1(SALU_CYCLE_1)
	s_add_co_i32 s3, s3, s2
	s_cmp_eq_u32 s21, 0
	s_cselect_b32 s26, ttmp7, s3
	s_ashr_i32 s27, s26, 31
	s_delay_alu instid0(SALU_CYCLE_1)
	s_lshl_b64 s[2:3], s[26:27], 2
	s_wait_kmcnt 0x0
	s_and_b32 s33, s20, 0xffff
	s_mul_u64 s[14:15], s[14:15], s[26:27]
	s_mul_u64 s[8:9], s[8:9], s[26:27]
	s_add_nc_u64 s[22:23], s[16:17], s[2:3]
	s_lshl_b64 s[2:3], s[14:15], 3
	s_lshl_b64 s[14:15], s[8:9], 3
	s_cmp_lg_u32 s4, 0xe7
	s_add_nc_u64 s[8:9], s[12:13], s[2:3]
	s_add_nc_u64 s[20:21], s[18:19], s[14:15]
	s_mov_b32 s2, -1
	s_cbranch_scc0 .LBB26_52
; %bb.1:
	s_load_b128 s[16:19], s[0:1], 0x58
	s_mul_i32 s2, s5, 5
	s_mov_b32 s40, s5
	s_add_co_i32 s2, s2, 2
	s_ashr_i32 s41, s5, 31
	s_mul_i32 s2, s2, s26
	s_lshl_b32 s12, s5, 1
	s_ashr_i32 s3, s2, 31
	s_lshl_b64 s[46:47], s[40:41], 2
	s_lshl_b64 s[42:43], s[2:3], 2
	s_ashr_i32 s13, s12, 31
	s_mov_b32 s48, exec_lo
	s_lshl_b64 s[44:45], s[12:13], 2
	s_wait_kmcnt 0x0
	s_add_nc_u64 s[2:3], s[16:17], s[42:43]
	s_delay_alu instid0(SALU_CYCLE_1) | instskip(NEXT) | instid1(SALU_CYCLE_1)
	s_add_nc_u64 s[28:29], s[2:3], s[46:47]
	s_add_nc_u64 s[24:25], s[28:29], s[44:45]
	v_cmpx_eq_u32_e32 0, v0
	s_cbranch_execz .LBB26_43
; %bb.2:
	s_lshl_b32 s50, s5, 2
	s_mov_b32 s49, 0
	s_or_b32 s2, s50, 2
	s_delay_alu instid0(SALU_CYCLE_1) | instskip(NEXT) | instid1(SALU_CYCLE_1)
	s_mul_i32 s2, s2, s26
	s_ashr_i32 s3, s2, 31
	s_delay_alu instid0(SALU_CYCLE_1)
	s_lshl_b64 s[2:3], s[2:3], 3
	s_cmp_gt_i32 s5, 0
	s_add_nc_u64 s[30:31], s[18:19], s[2:3]
	s_cselect_b32 s3, -1, 0
	s_load_b128 s[12:15], s[30:31], 0x0
	s_cmp_eq_u32 s4, 0xe9
	s_cbranch_scc1 .LBB26_8
; %bb.3:
	s_and_not1_b32 vcc_lo, exec_lo, s3
	s_cbranch_vccnz .LBB26_9
; %bb.4:
	s_add_nc_u64 s[34:35], s[46:47], s[42:43]
	v_dual_mov_b32 v1, 0 :: v_dual_mov_b32 v4, 1
	s_add_nc_u64 s[34:35], s[34:35], s[44:45]
	s_mov_b64 s[36:37], s[8:9]
	s_add_nc_u64 s[34:35], s[16:17], s[34:35]
	s_mov_b32 s4, s40
	s_add_nc_u64 s[34:35], s[34:35], 8
	s_branch .LBB26_6
.LBB26_5:                               ;   in Loop: Header=BB26_6 Depth=1
	s_add_co_i32 s4, s4, -1
	s_wait_xcnt 0x0
	s_add_nc_u64 s[34:35], s[34:35], 4
	s_cmp_eq_u32 s4, 0
	s_add_nc_u64 s[36:37], s[36:37], 8
	s_cbranch_scc1 .LBB26_9
.LBB26_6:                               ; =>This Inner Loop Header: Depth=1
	s_clause 0x1
	global_load_b64 v[2:3], v1, s[36:37]
	global_store_b32 v1, v1, s[34:35]
	s_wait_loadcnt 0x0
	s_wait_kmcnt 0x0
	v_cmp_nle_f64_e32 vcc_lo, s[12:13], v[2:3]
	v_cmp_nge_f64_e64 s2, s[14:15], v[2:3]
	s_or_b32 s2, vcc_lo, s2
	s_delay_alu instid0(SALU_CYCLE_1)
	s_and_b32 vcc_lo, exec_lo, s2
	s_cbranch_vccnz .LBB26_5
; %bb.7:                                ;   in Loop: Header=BB26_6 Depth=1
	v_mov_b32_e32 v5, s49
	s_add_co_i32 s49, s49, 1
	global_store_b32 v1, v4, s[34:35]
	global_store_b64 v5, v[2:3], s[20:21] scale_offset
	s_branch .LBB26_5
.LBB26_8:
                                        ; implicit-def: $sgpr49
	s_branch .LBB26_10
.LBB26_9:
	s_cbranch_execnz .LBB26_42
.LBB26_10:
	s_lshl_b64 s[34:35], s[40:41], 3
	s_and_not1_b32 vcc_lo, exec_lo, s3
	s_add_nc_u64 s[36:37], s[30:31], s[34:35]
	s_delay_alu instid0(SALU_CYCLE_1)
	s_add_nc_u64 s[38:39], s[36:37], s[34:35]
	s_cbranch_vccnz .LBB26_15
; %bb.11:
	s_add_nc_u64 s[42:43], s[46:47], s[42:43]
	v_dual_mov_b32 v1, 0 :: v_dual_mov_b32 v4, 1
	s_add_nc_u64 s[42:43], s[42:43], s[44:45]
	s_mov_b32 s3, 0
	s_add_nc_u64 s[16:17], s[16:17], s[42:43]
	s_mov_b64 s[42:43], s[8:9]
	s_add_nc_u64 s[16:17], s[16:17], 8
	s_mov_b32 s4, 0
	s_branch .LBB26_13
.LBB26_12:                              ;   in Loop: Header=BB26_13 Depth=1
	s_add_co_i32 s3, s3, 1
	s_wait_xcnt 0x0
	s_add_nc_u64 s[16:17], s[16:17], 4
	s_cmp_eq_u32 s5, s3
	s_add_nc_u64 s[42:43], s[42:43], 8
	s_cbranch_scc1 .LBB26_16
.LBB26_13:                              ; =>This Inner Loop Header: Depth=1
	s_clause 0x1
	global_load_b64 v[2:3], v1, s[42:43]
	global_store_b32 v1, v1, s[16:17]
	s_wait_loadcnt 0x0
	s_wait_kmcnt 0x0
	v_cmp_nle_f64_e32 vcc_lo, s[12:13], v[2:3]
	v_cmp_nge_f64_e64 s2, s[14:15], v[2:3]
	s_or_b32 s2, vcc_lo, s2
	s_delay_alu instid0(SALU_CYCLE_1)
	s_and_b32 vcc_lo, exec_lo, s2
	s_cbranch_vccnz .LBB26_12
; %bb.14:                               ;   in Loop: Header=BB26_13 Depth=1
	s_add_co_i32 s44, s4, s5
	s_delay_alu instid0(SALU_CYCLE_1)
	v_dual_mov_b32 v5, s4 :: v_dual_mov_b32 v6, s44
	s_add_co_i32 s2, s4, 1
	v_mov_b32_e32 v7, s3
	s_mov_b32 s4, s2
	global_store_b32 v1, v4, s[16:17]
	s_clause 0x1
	global_store_b64 v5, v[2:3], s[38:39] offset:16 scale_offset
	global_store_b64 v6, v[2:3], s[38:39] offset:16 scale_offset
	global_store_b32 v5, v7, s[28:29] offset:8 scale_offset
	s_branch .LBB26_12
.LBB26_15:
	s_mov_b32 s4, 0
.LBB26_16:
	s_delay_alu instid0(SALU_CYCLE_1)
	s_cmp_lt_i32 s4, 2
	s_mul_u64 s[2:3], s[40:41], 24
	s_cbranch_scc1 .LBB26_23
; %bb.17:
	s_wait_kmcnt 0x0
	s_add_co_i32 s12, s50, 2
	v_mov_b32_e32 v1, 0
	s_mul_i32 s12, s26, s12
	s_mov_b32 s40, 1
	s_ashr_i32 s13, s12, 31
	s_delay_alu instid0(SALU_CYCLE_1) | instskip(NEXT) | instid1(SALU_CYCLE_1)
	s_lshl_b64 s[12:13], s[12:13], 3
	s_add_nc_u64 s[12:13], s[2:3], s[12:13]
	s_delay_alu instid0(SALU_CYCLE_1)
	s_add_nc_u64 s[16:17], s[18:19], s[12:13]
	s_add_nc_u64 s[12:13], s[38:39], s[34:35]
	;; [unrolled: 1-line block ×3, first 2 shown]
	s_branch .LBB26_19
.LBB26_18:                              ;   in Loop: Header=BB26_19 Depth=1
	s_add_co_i32 s40, s40, 1
	s_add_nc_u64 s[16:17], s[16:17], 8
	s_cmp_lg_u32 s40, s4
	s_cbranch_scc0 .LBB26_23
.LBB26_19:                              ; =>This Loop Header: Depth=1
                                        ;     Child Loop BB26_20 Depth 2
	s_wait_xcnt 0x1
	v_mov_b32_e32 v2, s40
	s_ashr_i32 s41, s40, 31
	s_mov_b64 s[44:45], s[16:17]
	s_wait_xcnt 0x0
	s_lshl_b64 s[42:43], s[40:41], 3
	s_add_co_i32 s41, s40, -1
	global_load_b64 v[2:3], v2, s[12:13] offset:8 scale_offset
	s_add_nc_u64 s[42:43], s[12:13], s[42:43]
	s_mov_b32 s47, s40
	s_mov_b32 s46, s41
	s_wait_loadcnt 0x0
	v_mov_b64_e32 v[4:5], v[2:3]
.LBB26_20:                              ;   Parent Loop BB26_19 Depth=1
                                        ; =>  This Inner Loop Header: Depth=2
	global_load_b64 v[6:7], v1, s[44:45]
	s_wait_xcnt 0x0
	s_add_nc_u64 s[44:45], s[44:45], 8
	s_wait_loadcnt 0x0
	v_cmp_lt_f64_e32 vcc_lo, v[6:7], v[4:5]
	v_dual_cndmask_b32 v5, v5, v7 :: v_dual_cndmask_b32 v4, v4, v6
	s_and_b32 s49, vcc_lo, exec_lo
	s_cselect_b32 s46, s47, s46
	s_add_co_i32 s47, s47, 1
	s_delay_alu instid0(SALU_CYCLE_1)
	s_cmp_eq_u32 s4, s47
	s_cbranch_scc0 .LBB26_20
; %bb.21:                               ;   in Loop: Header=BB26_19 Depth=1
	s_cmp_lg_u32 s46, s41
	s_cbranch_scc0 .LBB26_18
; %bb.22:                               ;   in Loop: Header=BB26_19 Depth=1
	v_mov_b32_e32 v6, s46
	s_clause 0x1
	global_store_b64 v6, v[2:3], s[12:13] offset:16 scale_offset
	global_store_b64 v1, v[4:5], s[42:43] offset:8
	s_branch .LBB26_18
.LBB26_23:
	s_cmp_lt_i32 s4, 1
	s_cbranch_scc1 .LBB26_41
; %bb.24:
	s_wait_xcnt 0x0
	s_add_co_i32 s42, s4, -1
	s_cmp_gt_i32 s5, 1
	v_mov_b32_e32 v1, 0
	s_cselect_b32 s43, -1, 0
	s_add_co_i32 s50, s50, 2
	s_wait_kmcnt 0x0
	s_mov_b32 s13, 0
	s_mul_i32 s16, s26, s50
	s_add_co_i32 s44, s5, -1
	s_ashr_i32 s17, s16, 31
	s_mov_b32 s12, s13
	s_lshl_b64 s[16:17], s[16:17], 3
	s_mov_b32 s49, s13
	s_add_nc_u64 s[2:3], s[2:3], s[16:17]
	s_add_nc_u64 s[40:41], s[18:19], s[16:17]
	;; [unrolled: 1-line block ×4, first 2 shown]
	s_branch .LBB26_27
.LBB26_25:                              ;   in Loop: Header=BB26_27 Depth=1
	s_mov_b32 s49, s2
.LBB26_26:                              ;   in Loop: Header=BB26_27 Depth=1
	s_add_co_i32 s12, s12, 1
	s_delay_alu instid0(SALU_CYCLE_1)
	s_cmp_eq_u32 s12, s4
	s_cbranch_scc1 .LBB26_42
.LBB26_27:                              ; =>This Loop Header: Depth=1
                                        ;     Child Loop BB26_29 Depth 2
                                        ;     Child Loop BB26_36 Depth 2
	s_wait_xcnt 0x0
	v_mov_b32_e32 v2, s12
	s_mov_b64 s[40:41], s[16:17]
	s_mov_b32 s46, s13
	global_load_b64 v[2:3], v2, s[38:39] offset:16 scale_offset
	s_branch .LBB26_29
.LBB26_28:                              ;   in Loop: Header=BB26_29 Depth=2
	s_add_co_i32 s46, s45, 1
	s_wait_xcnt 0x0
	s_add_nc_u64 s[40:41], s[2:3], 8
	s_cmp_eq_u32 s4, s46
	s_mov_b32 s47, 0
	s_cselect_b32 s50, -1, 0
	s_delay_alu instid0(SALU_CYCLE_1)
	s_and_not1_b32 vcc_lo, exec_lo, s50
	s_cbranch_vccz .LBB26_31
.LBB26_29:                              ;   Parent Loop BB26_27 Depth=1
                                        ; =>  This Inner Loop Header: Depth=2
	global_load_b64 v[6:7], v1, s[40:41] offset:16
	s_mov_b64 s[2:3], s[40:41]
	s_mov_b32 s45, s46
	s_wait_loadcnt 0x0
	v_cmp_neq_f64_e32 vcc_lo, v[2:3], v[6:7]
	s_cbranch_vccnz .LBB26_28
; %bb.30:                               ;   in Loop: Header=BB26_27 Depth=1
	s_mov_b32 s47, -1
                                        ; implicit-def: $sgpr46
                                        ; implicit-def: $sgpr40_sgpr41
.LBB26_31:                              ;   in Loop: Header=BB26_27 Depth=1
	s_delay_alu instid0(SALU_CYCLE_1)
	s_and_b32 vcc_lo, exec_lo, s47
	s_cbranch_vccz .LBB26_26
; %bb.32:                               ;   in Loop: Header=BB26_27 Depth=1
	v_mov_b64_e32 v[8:9], s[14:15]
	s_cmp_eq_u32 s45, s42
	s_cbranch_scc1 .LBB26_34
; %bb.33:                               ;   in Loop: Header=BB26_27 Depth=1
	global_load_b64 v[8:9], v1, s[2:3] offset:24
.LBB26_34:                              ;   in Loop: Header=BB26_27 Depth=1
	s_clause 0x1
	global_load_b64 v[10:11], v1, s[36:37] offset:16
	global_load_b64 v[4:5], v1, s[30:31] offset:16
	s_wait_loadcnt 0x2
	v_add_f64_e64 v[6:7], v[8:9], -v[6:7]
	s_and_not1_b32 vcc_lo, exec_lo, s43
	s_delay_alu instid0(VALU_DEP_1) | instskip(SKIP_1) | instid1(VALU_DEP_1)
	v_fma_f64 v[6:7], 0.5, v[6:7], v[2:3]
	s_wait_loadcnt 0x1
	v_add_f64_e64 v[8:9], v[10:11], -v[6:7]
	s_wait_loadcnt 0x0
	s_wait_xcnt 0x2
	s_delay_alu instid0(VALU_DEP_1) | instskip(NEXT) | instid1(VALU_DEP_1)
	v_cmp_le_f64_e64 s2, v[8:9], v[4:5]
	v_cndmask_b32_e64 v10, 0, 1, s2
	s_delay_alu instid0(VALU_DEP_1)
	v_readfirstlane_b32 s3, v10
	s_cbranch_vccnz .LBB26_37
; %bb.35:                               ;   in Loop: Header=BB26_27 Depth=1
	v_cmp_gt_f64_e64 s40, v[8:9], -v[4:5]
	v_xor_b32_e32 v10, 0x80000000, v5
	s_mov_b32 s45, s44
	s_and_b32 vcc_lo, s2, s40
	s_mov_b64 s[40:41], s[18:19]
	s_delay_alu instid0(VALU_DEP_1)
	v_dual_cndmask_b32 v9, v9, v10 :: v_dual_cndmask_b32 v8, v8, v4
.LBB26_36:                              ;   Parent Loop BB26_27 Depth=1
                                        ; =>  This Inner Loop Header: Depth=2
	s_wait_xcnt 0x0
	s_add_nc_u64 s[46:47], s[40:41], s[34:35]
	s_clause 0x1
	global_load_b64 v[12:13], v1, s[40:41]
	global_load_b64 v[14:15], v1, s[46:47]
	s_wait_xcnt 0x1
	s_add_nc_u64 s[40:41], s[40:41], 8
	s_wait_loadcnt 0x1
	v_div_scale_f64 v[16:17], null, v[8:9], v[8:9], v[12:13]
	v_div_scale_f64 v[22:23], vcc_lo, v[12:13], v[8:9], v[12:13]
	s_wait_loadcnt 0x0
	v_add_f64_e64 v[14:15], v[14:15], -v[6:7]
	s_delay_alu instid0(VALU_DEP_3) | instskip(SKIP_1) | instid1(TRANS32_DEP_1)
	v_rcp_f64_e32 v[18:19], v[16:17]
	v_nop
	v_fma_f64 v[20:21], -v[16:17], v[18:19], 1.0
	s_delay_alu instid0(VALU_DEP_1) | instskip(NEXT) | instid1(VALU_DEP_1)
	v_fmac_f64_e32 v[18:19], v[18:19], v[20:21]
	v_fma_f64 v[20:21], -v[16:17], v[18:19], 1.0
	s_delay_alu instid0(VALU_DEP_1) | instskip(NEXT) | instid1(VALU_DEP_1)
	v_fmac_f64_e32 v[18:19], v[18:19], v[20:21]
	v_mul_f64_e32 v[20:21], v[22:23], v[18:19]
	s_delay_alu instid0(VALU_DEP_1) | instskip(NEXT) | instid1(VALU_DEP_1)
	v_fma_f64 v[16:17], -v[16:17], v[20:21], v[22:23]
	v_div_fmas_f64 v[16:17], v[16:17], v[18:19], v[20:21]
	s_delay_alu instid0(VALU_DEP_1) | instskip(NEXT) | instid1(VALU_DEP_1)
	v_div_fixup_f64 v[8:9], v[16:17], v[8:9], v[12:13]
	v_add_f64_e64 v[8:9], v[14:15], -v[8:9]
	s_delay_alu instid0(VALU_DEP_1)
	v_cmp_le_f64_e32 vcc_lo, v[8:9], v[4:5]
	v_cmp_gt_f64_e64 s2, v[8:9], -v[4:5]
	s_and_b32 s2, vcc_lo, s2
	s_cmp_lg_u32 vcc_lo, 0
	v_dual_cndmask_b32 v9, v9, v10, s2 :: v_dual_cndmask_b32 v8, v8, v4, s2
	s_add_co_ci_u32 s3, s3, 0
	s_add_co_i32 s45, s45, -1
	s_delay_alu instid0(SALU_CYCLE_1)
	s_cmp_lg_u32 s45, 0
	s_cbranch_scc1 .LBB26_36
.LBB26_37:                              ;   in Loop: Header=BB26_27 Depth=1
	s_cmp_lt_i32 s3, s6
	s_cselect_b32 s2, -1, 0
	s_cmp_gt_i32 s3, s7
	s_cselect_b32 s3, -1, 0
	s_delay_alu instid0(SALU_CYCLE_1)
	s_or_b32 s2, s2, s3
	s_mov_b32 s3, -1
	s_and_b32 vcc_lo, exec_lo, s2
                                        ; implicit-def: $sgpr2
	s_cbranch_vccnz .LBB26_39
; %bb.38:                               ;   in Loop: Header=BB26_27 Depth=1
	v_mov_b32_e32 v4, s49
	s_add_co_i32 s2, s49, 1
	s_mov_b32 s3, 0
	global_store_b64 v4, v[2:3], s[20:21] scale_offset
.LBB26_39:                              ;   in Loop: Header=BB26_27 Depth=1
	s_and_not1_b32 vcc_lo, exec_lo, s3
	s_cbranch_vccnz .LBB26_25
; %bb.40:                               ;   in Loop: Header=BB26_27 Depth=1
	s_lshl_b64 s[2:3], s[12:13], 2
	s_delay_alu instid0(SALU_CYCLE_1)
	s_add_nc_u64 s[2:3], s[28:29], s[2:3]
	global_load_b32 v2, v1, s[2:3] offset:8
	s_wait_xcnt 0x0
	s_mov_b32 s2, s49
	s_wait_loadcnt 0x0
	global_store_b32 v2, v1, s[24:25] offset:8 scale_offset
	s_branch .LBB26_25
.LBB26_41:
	s_mov_b32 s49, 0
.LBB26_42:
	s_wait_xcnt 0x0
	v_dual_mov_b32 v1, 0 :: v_dual_mov_b32 v2, s49
	global_store_b32 v1, v2, s[22:23]
.LBB26_43:
	s_wait_xcnt 0x0
	s_or_b32 exec_lo, exec_lo, s48
	s_cmp_lt_i32 s5, 1
	s_wait_storecnt 0x0
	s_barrier_signal -1
	s_barrier_wait -1
	s_cbranch_scc1 .LBB26_51
; %bb.44:
	s_clause 0x1
	s_load_b64 s[2:3], s[0:1], 0x48
	s_load_b32 s4, s[0:1], 0x40
	v_cmp_le_i32_e32 vcc_lo, s5, v0
	v_mov_b32_e32 v2, v0
	s_wait_xcnt 0x0
	s_mov_b32 s1, 0
	s_lshl_b32 s0, s33, 3
	s_wait_kmcnt 0x0
	s_mov_b32 s12, s1
	s_xor_b32 s13, vcc_lo, -1
	s_mul_u64 s[2:3], s[2:3], s[26:27]
	s_delay_alu instid0(SALU_CYCLE_1) | instskip(NEXT) | instid1(SALU_CYCLE_1)
	s_lshl_b64 s[2:3], s[2:3], 3
	s_add_nc_u64 s[2:3], s[10:11], s[2:3]
	s_mov_b32 s10, s1
	s_branch .LBB26_47
.LBB26_45:                              ;   in Loop: Header=BB26_47 Depth=1
	s_or_b32 exec_lo, exec_lo, s11
	s_add_co_i32 s10, s10, 1
.LBB26_46:                              ;   in Loop: Header=BB26_47 Depth=1
	v_add_nc_u32_e32 v2, s4, v2
	s_add_co_i32 s12, s12, 1
	s_wait_storecnt 0x0
	s_cmp_lg_u32 s12, s5
	s_barrier_signal -1
	s_barrier_wait -1
	s_cbranch_scc0 .LBB26_51
.LBB26_47:                              ; =>This Loop Header: Depth=1
                                        ;     Child Loop BB26_50 Depth 2
	v_mov_b32_e32 v1, s12
	global_load_b32 v1, v1, s[24:25] offset:8 scale_offset
	s_wait_loadcnt 0x0
	v_cmp_ne_u32_e32 vcc_lo, 1, v1
	s_cbranch_vccnz .LBB26_46
; %bb.48:                               ;   in Loop: Header=BB26_47 Depth=1
	s_cmp_lg_u32 s12, s10
	s_cselect_b32 s6, -1, 0
	s_delay_alu instid0(SALU_CYCLE_1) | instskip(NEXT) | instid1(SALU_CYCLE_1)
	s_and_b32 s6, s6, s13
	s_and_saveexec_b32 s11, s6
	s_cbranch_execz .LBB26_45
; %bb.49:                               ;   in Loop: Header=BB26_47 Depth=1
	v_mad_u32 v6, s10, s4, v0
	v_dual_ashrrev_i32 v3, 31, v2 :: v_dual_mov_b32 v1, v0
	s_mov_b32 s14, 0
	s_mov_b64 s[6:7], s[2:3]
	s_delay_alu instid0(VALU_DEP_1) | instskip(NEXT) | instid1(VALU_DEP_3)
	v_lshlrev_b64_e32 v[4:5], 3, v[2:3]
	v_ashrrev_i32_e32 v7, 31, v6
	s_delay_alu instid0(VALU_DEP_1)
	v_lshlrev_b64_e32 v[6:7], 3, v[6:7]
.LBB26_50:                              ;   Parent Loop BB26_47 Depth=1
                                        ; =>  This Inner Loop Header: Depth=2
	s_delay_alu instid0(VALU_DEP_3) | instskip(SKIP_1) | instid1(VALU_DEP_3)
	v_add_nc_u64_e32 v[8:9], s[6:7], v[4:5]
	v_add_nc_u32_e32 v1, s33, v1
	v_add_nc_u64_e32 v[10:11], s[6:7], v[6:7]
	s_add_nc_u64 s[6:7], s[6:7], s[0:1]
	s_delay_alu instid0(VALU_DEP_2)
	v_cmp_le_i32_e32 vcc_lo, s5, v1
	global_load_b64 v[8:9], v[8:9], off
	s_or_b32 s14, vcc_lo, s14
	s_wait_loadcnt 0x0
	global_store_b64 v[10:11], v[8:9], off
	s_wait_xcnt 0x0
	s_and_not1_b32 exec_lo, exec_lo, s14
	s_cbranch_execnz .LBB26_50
	s_branch .LBB26_45
.LBB26_51:
	s_mov_b32 s2, 0
.LBB26_52:
	s_delay_alu instid0(SALU_CYCLE_1)
	s_and_b32 vcc_lo, exec_lo, s2
	s_cbranch_vccz .LBB26_56
; %bb.53:
	v_dual_mov_b32 v3, 0 :: v_dual_mov_b32 v1, s5
	s_mov_b32 s0, exec_lo
	global_store_b32 v3, v1, s[22:23]
	s_wait_xcnt 0x0
	v_cmpx_gt_i32_e64 s5, v0
	s_cbranch_execz .LBB26_56
; %bb.54:
	v_lshlrev_b32_e32 v2, 3, v0
	s_mov_b32 s1, 0
	s_lshl_b32 s0, s33, 3
	s_mov_b32 s2, s1
.LBB26_55:                              ; =>This Inner Loop Header: Depth=1
	s_delay_alu instid0(VALU_DEP_1) | instskip(SKIP_3) | instid1(VALU_DEP_3)
	v_add_nc_u64_e32 v[4:5], s[8:9], v[2:3]
	v_add_nc_u32_e32 v0, s33, v0
	v_add_nc_u64_e32 v[6:7], s[20:21], v[2:3]
	v_add_nc_u64_e32 v[2:3], s[0:1], v[2:3]
	v_cmp_le_i32_e32 vcc_lo, s5, v0
	global_load_b64 v[4:5], v[4:5], off
	s_or_b32 s2, vcc_lo, s2
	s_wait_loadcnt 0x0
	global_store_b64 v[6:7], v[4:5], off
	s_wait_xcnt 0x0
	s_and_not1_b32 exec_lo, exec_lo, s2
	s_cbranch_execnz .LBB26_55
.LBB26_56:
	s_endpgm
	.section	.rodata,"a",@progbits
	.p2align	6, 0x0
	.amdhsa_kernel _ZN9rocsolver6v33100L23stedcx_synthesis_kernelIdEEv15rocblas_erange_iiiPT_lPiS4_lS4_iliS5_S4_S3_
		.amdhsa_group_segment_fixed_size 0
		.amdhsa_private_segment_fixed_size 0
		.amdhsa_kernarg_size 368
		.amdhsa_user_sgpr_count 2
		.amdhsa_user_sgpr_dispatch_ptr 0
		.amdhsa_user_sgpr_queue_ptr 0
		.amdhsa_user_sgpr_kernarg_segment_ptr 1
		.amdhsa_user_sgpr_dispatch_id 0
		.amdhsa_user_sgpr_kernarg_preload_length 0
		.amdhsa_user_sgpr_kernarg_preload_offset 0
		.amdhsa_user_sgpr_private_segment_size 0
		.amdhsa_wavefront_size32 1
		.amdhsa_uses_dynamic_stack 0
		.amdhsa_enable_private_segment 0
		.amdhsa_system_sgpr_workgroup_id_x 1
		.amdhsa_system_sgpr_workgroup_id_y 1
		.amdhsa_system_sgpr_workgroup_id_z 0
		.amdhsa_system_sgpr_workgroup_info 0
		.amdhsa_system_vgpr_workitem_id 0
		.amdhsa_next_free_vgpr 24
		.amdhsa_next_free_sgpr 51
		.amdhsa_named_barrier_count 0
		.amdhsa_reserve_vcc 1
		.amdhsa_float_round_mode_32 0
		.amdhsa_float_round_mode_16_64 0
		.amdhsa_float_denorm_mode_32 3
		.amdhsa_float_denorm_mode_16_64 3
		.amdhsa_fp16_overflow 0
		.amdhsa_memory_ordered 1
		.amdhsa_forward_progress 1
		.amdhsa_inst_pref_size 18
		.amdhsa_round_robin_scheduling 0
		.amdhsa_exception_fp_ieee_invalid_op 0
		.amdhsa_exception_fp_denorm_src 0
		.amdhsa_exception_fp_ieee_div_zero 0
		.amdhsa_exception_fp_ieee_overflow 0
		.amdhsa_exception_fp_ieee_underflow 0
		.amdhsa_exception_fp_ieee_inexact 0
		.amdhsa_exception_int_div_zero 0
	.end_amdhsa_kernel
	.section	.text._ZN9rocsolver6v33100L23stedcx_synthesis_kernelIdEEv15rocblas_erange_iiiPT_lPiS4_lS4_iliS5_S4_S3_,"axG",@progbits,_ZN9rocsolver6v33100L23stedcx_synthesis_kernelIdEEv15rocblas_erange_iiiPT_lPiS4_lS4_iliS5_S4_S3_,comdat
.Lfunc_end26:
	.size	_ZN9rocsolver6v33100L23stedcx_synthesis_kernelIdEEv15rocblas_erange_iiiPT_lPiS4_lS4_iliS5_S4_S3_, .Lfunc_end26-_ZN9rocsolver6v33100L23stedcx_synthesis_kernelIdEEv15rocblas_erange_iiiPT_lPiS4_lS4_iliS5_S4_S3_
                                        ; -- End function
	.set _ZN9rocsolver6v33100L23stedcx_synthesis_kernelIdEEv15rocblas_erange_iiiPT_lPiS4_lS4_iliS5_S4_S3_.num_vgpr, 24
	.set _ZN9rocsolver6v33100L23stedcx_synthesis_kernelIdEEv15rocblas_erange_iiiPT_lPiS4_lS4_iliS5_S4_S3_.num_agpr, 0
	.set _ZN9rocsolver6v33100L23stedcx_synthesis_kernelIdEEv15rocblas_erange_iiiPT_lPiS4_lS4_iliS5_S4_S3_.numbered_sgpr, 51
	.set _ZN9rocsolver6v33100L23stedcx_synthesis_kernelIdEEv15rocblas_erange_iiiPT_lPiS4_lS4_iliS5_S4_S3_.num_named_barrier, 0
	.set _ZN9rocsolver6v33100L23stedcx_synthesis_kernelIdEEv15rocblas_erange_iiiPT_lPiS4_lS4_iliS5_S4_S3_.private_seg_size, 0
	.set _ZN9rocsolver6v33100L23stedcx_synthesis_kernelIdEEv15rocblas_erange_iiiPT_lPiS4_lS4_iliS5_S4_S3_.uses_vcc, 1
	.set _ZN9rocsolver6v33100L23stedcx_synthesis_kernelIdEEv15rocblas_erange_iiiPT_lPiS4_lS4_iliS5_S4_S3_.uses_flat_scratch, 0
	.set _ZN9rocsolver6v33100L23stedcx_synthesis_kernelIdEEv15rocblas_erange_iiiPT_lPiS4_lS4_iliS5_S4_S3_.has_dyn_sized_stack, 0
	.set _ZN9rocsolver6v33100L23stedcx_synthesis_kernelIdEEv15rocblas_erange_iiiPT_lPiS4_lS4_iliS5_S4_S3_.has_recursion, 0
	.set _ZN9rocsolver6v33100L23stedcx_synthesis_kernelIdEEv15rocblas_erange_iiiPT_lPiS4_lS4_iliS5_S4_S3_.has_indirect_call, 0
	.section	.AMDGPU.csdata,"",@progbits
; Kernel info:
; codeLenInByte = 2188
; TotalNumSgprs: 53
; NumVgprs: 24
; ScratchSize: 0
; MemoryBound: 0
; FloatMode: 240
; IeeeMode: 1
; LDSByteSize: 0 bytes/workgroup (compile time only)
; SGPRBlocks: 0
; VGPRBlocks: 1
; NumSGPRsForWavesPerEU: 53
; NumVGPRsForWavesPerEU: 24
; NamedBarCnt: 0
; Occupancy: 16
; WaveLimiterHint : 1
; COMPUTE_PGM_RSRC2:SCRATCH_EN: 0
; COMPUTE_PGM_RSRC2:USER_SGPR: 2
; COMPUTE_PGM_RSRC2:TRAP_HANDLER: 0
; COMPUTE_PGM_RSRC2:TGID_X_EN: 1
; COMPUTE_PGM_RSRC2:TGID_Y_EN: 1
; COMPUTE_PGM_RSRC2:TGID_Z_EN: 0
; COMPUTE_PGM_RSRC2:TIDIG_COMP_CNT: 0
	.section	.text._ZN9rocsolver6v33100L8copy_matIdPdNS0_7no_maskEEEvNS0_17copymat_directionEiiT0_iilPT_T1_13rocblas_fill_17rocblas_diagonal_,"axG",@progbits,_ZN9rocsolver6v33100L8copy_matIdPdNS0_7no_maskEEEvNS0_17copymat_directionEiiT0_iilPT_T1_13rocblas_fill_17rocblas_diagonal_,comdat
	.globl	_ZN9rocsolver6v33100L8copy_matIdPdNS0_7no_maskEEEvNS0_17copymat_directionEiiT0_iilPT_T1_13rocblas_fill_17rocblas_diagonal_ ; -- Begin function _ZN9rocsolver6v33100L8copy_matIdPdNS0_7no_maskEEEvNS0_17copymat_directionEiiT0_iilPT_T1_13rocblas_fill_17rocblas_diagonal_
	.p2align	8
	.type	_ZN9rocsolver6v33100L8copy_matIdPdNS0_7no_maskEEEvNS0_17copymat_directionEiiT0_iilPT_T1_13rocblas_fill_17rocblas_diagonal_,@function
_ZN9rocsolver6v33100L8copy_matIdPdNS0_7no_maskEEEvNS0_17copymat_directionEiiT0_iilPT_T1_13rocblas_fill_17rocblas_diagonal_: ; @_ZN9rocsolver6v33100L8copy_matIdPdNS0_7no_maskEEEvNS0_17copymat_directionEiiT0_iilPT_T1_13rocblas_fill_17rocblas_diagonal_
; %bb.0:
	s_clause 0x1
	s_load_b32 s2, s[0:1], 0x4c
	s_load_b96 s[12:14], s[0:1], 0x0
	s_bfe_u32 s5, ttmp6, 0x4000c
	s_bfe_u32 s7, ttmp6, 0x40010
	s_and_b32 s6, ttmp7, 0xffff
	s_add_co_i32 s5, s5, 1
	s_add_co_i32 s7, s7, 1
	s_and_b32 s4, ttmp6, 15
	s_bfe_u32 s8, ttmp6, 0x40004
	s_mul_i32 s5, ttmp9, s5
	s_mul_i32 s7, s6, s7
	s_getreg_b32 s3, hwreg(HW_REG_IB_STS2, 6, 4)
	v_bfe_u32 v1, v0, 10, 10
	v_and_b32_e32 v0, 0x3ff, v0
	s_add_co_i32 s4, s4, s5
	s_add_co_i32 s8, s8, s7
	s_wait_kmcnt 0x0
	s_lshr_b32 s5, s2, 16
	s_and_b32 s2, s2, 0xffff
	s_cmp_eq_u32 s3, 0
	s_cselect_b32 s4, ttmp9, s4
	s_cselect_b32 s6, s6, s8
	v_mad_u32 v0, s4, s2, v0
	v_mad_u32 v1, s6, s5, v1
	s_delay_alu instid0(VALU_DEP_2) | instskip(NEXT) | instid1(VALU_DEP_2)
	v_cmp_gt_u32_e32 vcc_lo, s13, v0
	v_cmp_gt_u32_e64 s2, s14, v1
	s_and_b32 s2, s2, vcc_lo
	s_delay_alu instid0(SALU_CYCLE_1)
	s_and_saveexec_b32 s4, s2
	s_cbranch_execz .LBB27_14
; %bb.1:
	s_load_b64 s[4:5], s[0:1], 0x34
	s_wait_kmcnt 0x0
	s_cmp_lt_i32 s4, 0x7a
	s_cbranch_scc1 .LBB27_4
; %bb.2:
	s_cmp_gt_i32 s4, 0x7a
	s_cbranch_scc0 .LBB27_5
; %bb.3:
	s_cmp_lg_u32 s4, 0x7b
	s_mov_b32 s6, -1
	s_cselect_b32 s7, -1, 0
	s_cbranch_execz .LBB27_6
	s_branch .LBB27_7
.LBB27_4:
	s_mov_b32 s7, 0
	s_mov_b32 s6, 0
	s_cbranch_execnz .LBB27_8
	s_branch .LBB27_10
.LBB27_5:
	s_mov_b32 s6, 0
	s_mov_b32 s7, 0
.LBB27_6:
	v_cmp_gt_u32_e32 vcc_lo, v0, v1
	v_cmp_le_u32_e64 s2, v0, v1
	s_and_not1_b32 s6, s6, exec_lo
	s_and_not1_b32 s7, s7, exec_lo
	s_and_b32 s8, vcc_lo, exec_lo
	s_and_b32 s2, s2, exec_lo
	s_or_b32 s6, s6, s8
	s_or_b32 s7, s7, s2
.LBB27_7:
	s_branch .LBB27_10
.LBB27_8:
	s_cmp_eq_u32 s4, 0x79
	s_mov_b32 s7, -1
	s_cbranch_scc0 .LBB27_10
; %bb.9:
	v_cmp_gt_u32_e32 vcc_lo, v1, v0
	v_cmp_le_u32_e64 s2, v1, v0
	s_and_not1_b32 s4, s6, exec_lo
	s_and_b32 s6, vcc_lo, exec_lo
	s_or_not1_b32 s7, s2, exec_lo
	s_or_b32 s6, s4, s6
.LBB27_10:
	s_and_saveexec_b32 s2, s7
; %bb.11:
	v_cmp_eq_u32_e32 vcc_lo, v0, v1
	s_cmp_eq_u32 s5, 0x83
	s_cselect_b32 s4, -1, 0
	s_and_not1_b32 s5, s6, exec_lo
	s_and_b32 s4, s4, vcc_lo
	s_delay_alu instid0(SALU_CYCLE_1) | instskip(NEXT) | instid1(SALU_CYCLE_1)
	s_and_b32 s4, s4, exec_lo
	s_or_b32 s6, s5, s4
; %bb.12:
	s_or_b32 exec_lo, exec_lo, s2
	s_delay_alu instid0(SALU_CYCLE_1)
	s_and_b32 exec_lo, exec_lo, s6
	s_cbranch_execz .LBB27_14
; %bb.13:
	s_load_b256 s[4:11], s[0:1], 0x10
	s_bfe_u32 s2, ttmp6, 0x40014
	s_lshr_b32 s16, ttmp7, 16
	s_add_co_i32 s2, s2, 1
	s_bfe_u32 s17, ttmp6, 0x40008
	s_mul_i32 s2, s16, s2
	s_wait_xcnt 0x0
	s_ashr_i32 s1, s13, 31
	s_ashr_i32 s15, s14, 31
	s_add_co_i32 s2, s17, s2
	s_mov_b32 s0, s13
	s_wait_kmcnt 0x0
	s_ashr_i32 s17, s6, 31
	s_cmp_eq_u32 s3, 0
	s_mov_b32 s3, 0
	s_cselect_b32 s2, s16, s2
	s_mov_b32 s16, s6
	s_mul_u64 s[0:1], s[0:1], s[2:3]
	s_mul_u64 s[8:9], s[8:9], s[2:3]
	;; [unrolled: 1-line block ×3, first 2 shown]
	s_lshl_b64 s[2:3], s[8:9], 3
	s_lshl_b64 s[8:9], s[16:17], 3
	;; [unrolled: 1-line block ×3, first 2 shown]
	s_cmp_eq_u32 s12, 0
	s_add_nc_u64 s[2:3], s[4:5], s[2:3]
	s_cselect_b32 s6, s7, s13
	s_add_nc_u64 s[2:3], s[2:3], s[8:9]
	v_mad_u32 v2, v1, s6, v0
	s_add_nc_u64 s[0:1], s[10:11], s[0:1]
	s_delay_alu instid0(SALU_CYCLE_1)
	s_cselect_b32 s5, s3, s1
	s_cselect_b32 s4, s2, s0
	;; [unrolled: 1-line block ×4, first 2 shown]
	global_load_b64 v[2:3], v2, s[4:5] scale_offset
	s_wait_xcnt 0x0
	s_cselect_b32 s4, s13, s7
	s_delay_alu instid0(SALU_CYCLE_1)
	v_mad_u32 v0, v1, s4, v0
	s_wait_loadcnt 0x0
	global_store_b64 v0, v[2:3], s[0:1] scale_offset
.LBB27_14:
	s_endpgm
	.section	.rodata,"a",@progbits
	.p2align	6, 0x0
	.amdhsa_kernel _ZN9rocsolver6v33100L8copy_matIdPdNS0_7no_maskEEEvNS0_17copymat_directionEiiT0_iilPT_T1_13rocblas_fill_17rocblas_diagonal_
		.amdhsa_group_segment_fixed_size 0
		.amdhsa_private_segment_fixed_size 0
		.amdhsa_kernarg_size 320
		.amdhsa_user_sgpr_count 2
		.amdhsa_user_sgpr_dispatch_ptr 0
		.amdhsa_user_sgpr_queue_ptr 0
		.amdhsa_user_sgpr_kernarg_segment_ptr 1
		.amdhsa_user_sgpr_dispatch_id 0
		.amdhsa_user_sgpr_kernarg_preload_length 0
		.amdhsa_user_sgpr_kernarg_preload_offset 0
		.amdhsa_user_sgpr_private_segment_size 0
		.amdhsa_wavefront_size32 1
		.amdhsa_uses_dynamic_stack 0
		.amdhsa_enable_private_segment 0
		.amdhsa_system_sgpr_workgroup_id_x 1
		.amdhsa_system_sgpr_workgroup_id_y 1
		.amdhsa_system_sgpr_workgroup_id_z 1
		.amdhsa_system_sgpr_workgroup_info 0
		.amdhsa_system_vgpr_workitem_id 1
		.amdhsa_next_free_vgpr 4
		.amdhsa_next_free_sgpr 18
		.amdhsa_named_barrier_count 0
		.amdhsa_reserve_vcc 1
		.amdhsa_float_round_mode_32 0
		.amdhsa_float_round_mode_16_64 0
		.amdhsa_float_denorm_mode_32 3
		.amdhsa_float_denorm_mode_16_64 3
		.amdhsa_fp16_overflow 0
		.amdhsa_memory_ordered 1
		.amdhsa_forward_progress 1
		.amdhsa_inst_pref_size 5
		.amdhsa_round_robin_scheduling 0
		.amdhsa_exception_fp_ieee_invalid_op 0
		.amdhsa_exception_fp_denorm_src 0
		.amdhsa_exception_fp_ieee_div_zero 0
		.amdhsa_exception_fp_ieee_overflow 0
		.amdhsa_exception_fp_ieee_underflow 0
		.amdhsa_exception_fp_ieee_inexact 0
		.amdhsa_exception_int_div_zero 0
	.end_amdhsa_kernel
	.section	.text._ZN9rocsolver6v33100L8copy_matIdPdNS0_7no_maskEEEvNS0_17copymat_directionEiiT0_iilPT_T1_13rocblas_fill_17rocblas_diagonal_,"axG",@progbits,_ZN9rocsolver6v33100L8copy_matIdPdNS0_7no_maskEEEvNS0_17copymat_directionEiiT0_iilPT_T1_13rocblas_fill_17rocblas_diagonal_,comdat
.Lfunc_end27:
	.size	_ZN9rocsolver6v33100L8copy_matIdPdNS0_7no_maskEEEvNS0_17copymat_directionEiiT0_iilPT_T1_13rocblas_fill_17rocblas_diagonal_, .Lfunc_end27-_ZN9rocsolver6v33100L8copy_matIdPdNS0_7no_maskEEEvNS0_17copymat_directionEiiT0_iilPT_T1_13rocblas_fill_17rocblas_diagonal_
                                        ; -- End function
	.set _ZN9rocsolver6v33100L8copy_matIdPdNS0_7no_maskEEEvNS0_17copymat_directionEiiT0_iilPT_T1_13rocblas_fill_17rocblas_diagonal_.num_vgpr, 4
	.set _ZN9rocsolver6v33100L8copy_matIdPdNS0_7no_maskEEEvNS0_17copymat_directionEiiT0_iilPT_T1_13rocblas_fill_17rocblas_diagonal_.num_agpr, 0
	.set _ZN9rocsolver6v33100L8copy_matIdPdNS0_7no_maskEEEvNS0_17copymat_directionEiiT0_iilPT_T1_13rocblas_fill_17rocblas_diagonal_.numbered_sgpr, 18
	.set _ZN9rocsolver6v33100L8copy_matIdPdNS0_7no_maskEEEvNS0_17copymat_directionEiiT0_iilPT_T1_13rocblas_fill_17rocblas_diagonal_.num_named_barrier, 0
	.set _ZN9rocsolver6v33100L8copy_matIdPdNS0_7no_maskEEEvNS0_17copymat_directionEiiT0_iilPT_T1_13rocblas_fill_17rocblas_diagonal_.private_seg_size, 0
	.set _ZN9rocsolver6v33100L8copy_matIdPdNS0_7no_maskEEEvNS0_17copymat_directionEiiT0_iilPT_T1_13rocblas_fill_17rocblas_diagonal_.uses_vcc, 1
	.set _ZN9rocsolver6v33100L8copy_matIdPdNS0_7no_maskEEEvNS0_17copymat_directionEiiT0_iilPT_T1_13rocblas_fill_17rocblas_diagonal_.uses_flat_scratch, 0
	.set _ZN9rocsolver6v33100L8copy_matIdPdNS0_7no_maskEEEvNS0_17copymat_directionEiiT0_iilPT_T1_13rocblas_fill_17rocblas_diagonal_.has_dyn_sized_stack, 0
	.set _ZN9rocsolver6v33100L8copy_matIdPdNS0_7no_maskEEEvNS0_17copymat_directionEiiT0_iilPT_T1_13rocblas_fill_17rocblas_diagonal_.has_recursion, 0
	.set _ZN9rocsolver6v33100L8copy_matIdPdNS0_7no_maskEEEvNS0_17copymat_directionEiiT0_iilPT_T1_13rocblas_fill_17rocblas_diagonal_.has_indirect_call, 0
	.section	.AMDGPU.csdata,"",@progbits
; Kernel info:
; codeLenInByte = 604
; TotalNumSgprs: 20
; NumVgprs: 4
; ScratchSize: 0
; MemoryBound: 0
; FloatMode: 240
; IeeeMode: 1
; LDSByteSize: 0 bytes/workgroup (compile time only)
; SGPRBlocks: 0
; VGPRBlocks: 0
; NumSGPRsForWavesPerEU: 20
; NumVGPRsForWavesPerEU: 4
; NamedBarCnt: 0
; Occupancy: 16
; WaveLimiterHint : 0
; COMPUTE_PGM_RSRC2:SCRATCH_EN: 0
; COMPUTE_PGM_RSRC2:USER_SGPR: 2
; COMPUTE_PGM_RSRC2:TRAP_HANDLER: 0
; COMPUTE_PGM_RSRC2:TGID_X_EN: 1
; COMPUTE_PGM_RSRC2:TGID_Y_EN: 1
; COMPUTE_PGM_RSRC2:TGID_Z_EN: 1
; COMPUTE_PGM_RSRC2:TIDIG_COMP_CNT: 1
	.section	.text._ZN9rocsolver6v33100L11stedcx_sortIddPdEEviPT0_lT1_iiliPiS6_,"axG",@progbits,_ZN9rocsolver6v33100L11stedcx_sortIddPdEEviPT0_lT1_iiliPiS6_,comdat
	.globl	_ZN9rocsolver6v33100L11stedcx_sortIddPdEEviPT0_lT1_iiliPiS6_ ; -- Begin function _ZN9rocsolver6v33100L11stedcx_sortIddPdEEviPT0_lT1_iiliPiS6_
	.p2align	8
	.type	_ZN9rocsolver6v33100L11stedcx_sortIddPdEEviPT0_lT1_iiliPiS6_,@function
_ZN9rocsolver6v33100L11stedcx_sortIddPdEEviPT0_lT1_iiliPiS6_: ; @_ZN9rocsolver6v33100L11stedcx_sortIddPdEEviPT0_lT1_iiliPiS6_
; %bb.0:
	s_load_b32 s33, s[0:1], 0x30
	s_bfe_u32 s2, ttmp6, 0x40014
	s_lshr_b32 s3, ttmp7, 16
	s_add_co_i32 s2, s2, 1
	s_bfe_u32 s4, ttmp6, 0x40008
	s_mul_i32 s2, s3, s2
	s_getreg_b32 s5, hwreg(HW_REG_IB_STS2, 6, 4)
	s_add_co_i32 s4, s4, s2
	s_cmp_eq_u32 s5, 0
	s_mov_b32 s19, 0
	s_cselect_b32 s16, s3, s4
	s_mov_b32 s32, 0
	s_wait_kmcnt 0x0
	s_cmp_ge_i32 s16, s33
	s_cbranch_scc1 .LBB28_70
; %bb.1:
	s_clause 0x3
	s_load_b32 s20, s[0:1], 0x0
	s_load_b256 s[4:11], s[0:1], 0x8
	s_load_b64 s[24:25], s[0:1], 0x28
	s_load_b128 s[12:15], s[0:1], 0x38
	s_mov_b32 s17, s19
	s_add_nc_u64 s[22:23], s[0:1], 0x48
	s_load_b32 s36, s[0:1], 0x50
	v_and_b32_e32 v6, 0x3ff, v0
	v_bfe_u32 v7, v0, 10, 10
	v_bfe_u32 v8, v0, 20, 10
	v_mov_b32_e32 v1, 0
	s_mov_b32 s27, s19
	s_mov_b32 s42, 0
	s_get_pc_i64 s[28:29]
	s_add_nc_u64 s[28:29], s[28:29], __const._ZN9rocsolver6v33100L20shell_sort_ascendingIdiEEvT0_PT_PS2_.gaps@rel64+4
	v_or3_b32 v0, v7, v8, v6
                                        ; implicit-def: $sgpr43
                                        ; implicit-def: $sgpr40
                                        ; implicit-def: $sgpr44
                                        ; implicit-def: $sgpr45
	s_wait_kmcnt 0x0
	s_ashr_i32 s21, s20, 31
	s_mov_b32 s30, s10
	s_mul_u64 s[0:1], s[20:21], s[16:17]
	s_mov_b32 s26, s11
	s_lshl_b64 s[2:3], s[0:1], 2
	s_cmp_lg_u64 s[8:9], 0
	v_cmp_eq_u32_e64 s0, 0, v0
	s_cselect_b32 s21, -1, 0
	s_ashr_i32 s31, s10, 31
	s_delay_alu instid0(SALU_CYCLE_1)
	s_lshl_b64 s[34:35], s[30:31], 3
	s_cmp_lg_u64 s[14:15], 0
	s_add_nc_u64 s[30:31], s[12:13], s[2:3]
	s_cselect_b32 s37, -1, 0
	s_cmp_eq_u64 s[4:5], 0
	s_add_nc_u64 s[8:9], s[8:9], s[34:35]
	s_cselect_b32 s38, -1, 0
	s_cmp_lg_u64 s[12:13], 0
	s_cselect_b32 s39, -1, 0
	s_min_i32 s1, s20, s11
	s_delay_alu instid0(SALU_CYCLE_1) | instskip(SKIP_1) | instid1(SALU_CYCLE_1)
	s_cmp_gt_i32 s1, 0
	s_cselect_b32 s1, -1, 0
	s_and_b32 s41, s1, s39
	s_branch .LBB28_4
.LBB28_2:                               ;   in Loop: Header=BB28_4 Depth=1
	s_or_b32 exec_lo, exec_lo, s2
	s_delay_alu instid0(SALU_CYCLE_1)
	s_and_not1_b32 s1, s45, exec_lo
	s_and_b32 s2, s10, exec_lo
	s_and_not1_b32 s44, s44, exec_lo
	s_or_b32 s45, s1, s2
	s_or_not1_b32 s47, s17, exec_lo
.LBB28_3:                               ;   in Loop: Header=BB28_4 Depth=1
	s_or_b32 exec_lo, exec_lo, s3
	s_delay_alu instid0(SALU_CYCLE_1) | instskip(NEXT) | instid1(SALU_CYCLE_1)
	s_and_b32 s1, exec_lo, s47
	s_or_b32 s42, s1, s42
	s_and_not1_b32 s1, s40, exec_lo
	s_and_b32 s2, s45, exec_lo
	s_and_not1_b32 s3, s43, exec_lo
	s_and_b32 s10, s44, exec_lo
	s_or_b32 s40, s1, s2
	s_or_b32 s43, s3, s10
	s_and_not1_b32 exec_lo, exec_lo, s42
	s_cbranch_execz .LBB28_66
.LBB28_4:                               ; =>This Loop Header: Depth=1
                                        ;     Child Loop BB28_11 Depth 2
                                        ;     Child Loop BB28_15 Depth 2
                                        ;       Child Loop BB28_18 Depth 3
                                        ;         Child Loop BB28_22 Depth 4
                                        ;     Child Loop BB28_33 Depth 2
                                        ;     Child Loop BB28_47 Depth 2
                                        ;       Child Loop BB28_50 Depth 3
                                        ;         Child Loop BB28_54 Depth 4
                                        ;     Child Loop BB28_58 Depth 2
	s_ashr_i32 s17, s16, 31
	s_and_not1_b32 vcc_lo, exec_lo, s21
	s_mov_b64 s[10:11], 0
	s_cbranch_vccnz .LBB28_6
; %bb.5:                                ;   in Loop: Header=BB28_4 Depth=1
	s_mul_u64 s[2:3], s[24:25], s[16:17]
	s_delay_alu instid0(SALU_CYCLE_1) | instskip(NEXT) | instid1(SALU_CYCLE_1)
	s_lshl_b64 s[2:3], s[2:3], 3
	s_add_nc_u64 s[10:11], s[8:9], s[2:3]
.LBB28_6:                               ;   in Loop: Header=BB28_4 Depth=1
	s_and_not1_b32 vcc_lo, exec_lo, s37
	s_mov_b32 s46, s20
	s_cbranch_vccnz .LBB28_8
; %bb.7:                                ;   in Loop: Header=BB28_4 Depth=1
	s_lshl_b64 s[2:3], s[16:17], 2
	s_delay_alu instid0(SALU_CYCLE_1)
	s_add_nc_u64 s[2:3], s[14:15], s[2:3]
	global_load_b32 v0, v1, s[2:3]
	s_wait_loadcnt 0x0
	v_readfirstlane_b32 s46, v0
.LBB28_8:                               ;   in Loop: Header=BB28_4 Depth=1
	s_delay_alu instid0(VALU_DEP_1) | instskip(SKIP_2) | instid1(SALU_CYCLE_1)
	s_cmp_lt_i32 s46, 1
	s_mov_b32 s47, -1
	s_cselect_b32 s1, -1, 0
	s_or_b32 s1, s38, s1
	s_barrier_signal -1
	s_and_b32 vcc_lo, exec_lo, s1
	s_mov_b32 s1, -1
	s_barrier_wait -1
	s_cbranch_vccnz .LBB28_42
; %bb.9:                                ;   in Loop: Header=BB28_4 Depth=1
	s_load_b64 s[2:3], s[22:23], 0xc
	s_barrier_signal -1
	s_barrier_wait -1
	s_wait_kmcnt 0x0
	s_and_b32 s1, s2, 0xffff
	s_lshr_b32 s2, s2, 16
	v_mad_u32_u24 v0, v7, s1, v6
	s_mul_i32 s48, s2, s1
	s_and_b32 s1, s3, 0xffff
	s_delay_alu instid0(VALU_DEP_1) | instskip(SKIP_1) | instid1(VALU_DEP_1)
	v_mad_u32 v0, s48, v8, v0
	s_mul_i32 s48, s48, s1
	v_cmp_gt_u32_e32 vcc_lo, s46, v0
	s_and_b32 s2, s39, vcc_lo
	s_delay_alu instid0(SALU_CYCLE_1)
	s_and_saveexec_b32 s1, s2
	s_cbranch_execz .LBB28_12
; %bb.10:                               ;   in Loop: Header=BB28_4 Depth=1
	v_mov_b32_e32 v2, v0
	s_mov_b32 s2, 0
.LBB28_11:                              ;   Parent Loop BB28_4 Depth=1
                                        ; =>  This Inner Loop Header: Depth=2
	global_store_b32 v2, v2, s[30:31] scale_offset
	s_wait_xcnt 0x0
	v_add_nc_u32_e32 v2, s48, v2
	s_delay_alu instid0(VALU_DEP_1) | instskip(SKIP_1) | instid1(SALU_CYCLE_1)
	v_cmp_le_u32_e32 vcc_lo, s46, v2
	s_or_b32 s2, vcc_lo, s2
	s_and_not1_b32 exec_lo, exec_lo, s2
	s_cbranch_execnz .LBB28_11
.LBB28_12:                              ;   in Loop: Header=BB28_4 Depth=1
	s_or_b32 exec_lo, exec_lo, s1
	s_mul_u64 s[2:3], s[6:7], s[16:17]
	s_wait_storecnt 0x0
	s_lshl_b64 s[2:3], s[2:3], 3
	s_barrier_signal -1
	s_add_nc_u64 s[2:3], s[4:5], s[2:3]
	s_barrier_wait -1
	s_and_saveexec_b32 s1, s0
	s_cbranch_execz .LBB28_29
; %bb.13:                               ;   in Loop: Header=BB28_4 Depth=1
	s_mov_b32 s17, 0
	s_branch .LBB28_15
.LBB28_14:                              ;   in Loop: Header=BB28_15 Depth=2
	s_wait_xcnt 0x0
	s_add_co_i32 s17, s17, 1
	s_delay_alu instid0(SALU_CYCLE_1)
	s_cmp_eq_u32 s17, 8
	s_cbranch_scc1 .LBB28_29
.LBB28_15:                              ;   Parent Loop BB28_4 Depth=1
                                        ; =>  This Loop Header: Depth=2
                                        ;       Child Loop BB28_18 Depth 3
                                        ;         Child Loop BB28_22 Depth 4
	s_load_b32 s49, s[28:29], s17 offset:0x0 scale_offset
	s_wait_kmcnt 0x0
	s_cmp_ge_i32 s49, s46
	s_cbranch_scc1 .LBB28_14
; %bb.16:                               ;   in Loop: Header=BB28_15 Depth=2
	s_mov_b32 s50, 0
	s_mov_b32 s12, s49
	s_branch .LBB28_18
.LBB28_17:                              ;   in Loop: Header=BB28_18 Depth=3
	s_add_co_i32 s12, s12, 1
	s_add_co_i32 s50, s50, 1
	s_cmp_ge_i32 s12, s46
	s_cbranch_scc1 .LBB28_14
.LBB28_18:                              ;   Parent Loop BB28_4 Depth=1
                                        ;     Parent Loop BB28_15 Depth=2
                                        ; =>    This Loop Header: Depth=3
                                        ;         Child Loop BB28_22 Depth 4
	s_wait_xcnt 0x0
	v_mov_b32_e32 v2, s12
	s_and_not1_b32 vcc_lo, exec_lo, s39
	s_ashr_i32 s13, s12, 31
	global_load_b64 v[2:3], v2, s[2:3] scale_offset
	s_cbranch_vccnz .LBB28_20
; %bb.19:                               ;   in Loop: Header=BB28_18 Depth=3
	s_lshl_b64 s[34:35], s[12:13], 2
	s_delay_alu instid0(SALU_CYCLE_1)
	s_add_nc_u64 s[34:35], s[30:31], s[34:35]
	global_load_b32 v9, v1, s[34:35]
	s_cmp_lt_i32 s12, s49
	s_wait_xcnt 0x0
	s_mov_b64 s[34:35], s[12:13]
	s_mov_b32 s18, s50
	s_cbranch_scc0 .LBB28_22
	s_branch .LBB28_27
.LBB28_20:                              ;   in Loop: Header=BB28_18 Depth=3
	v_mov_b32_e32 v9, 0
	s_cmp_lt_i32 s12, s49
	s_mov_b64 s[34:35], s[12:13]
	s_mov_b32 s18, s50
	s_cbranch_scc0 .LBB28_22
	s_branch .LBB28_27
.LBB28_21:                              ;   in Loop: Header=BB28_22 Depth=4
                                        ; implicit-def: $sgpr13
	s_and_b32 vcc_lo, exec_lo, s35
	s_mov_b32 s18, s13
	s_cbranch_vccnz .LBB28_26
.LBB28_22:                              ;   Parent Loop BB28_4 Depth=1
                                        ;     Parent Loop BB28_15 Depth=2
                                        ;       Parent Loop BB28_18 Depth=3
                                        ; =>      This Inner Loop Header: Depth=4
	s_wait_xcnt 0x0
	v_mov_b32_e32 v4, s18
	s_add_co_i32 s34, s49, s18
	s_mov_b32 s35, -1
	global_load_b64 v[4:5], v4, s[2:3] scale_offset
	s_wait_loadcnt 0x0
	v_cmp_ngt_f64_e32 vcc_lo, v[4:5], v[2:3]
	s_cbranch_vccnz .LBB28_21
; %bb.23:                               ;   in Loop: Header=BB28_22 Depth=4
	v_mov_b32_e32 v10, s34
	s_and_not1_b32 vcc_lo, exec_lo, s39
	global_store_b64 v10, v[4:5], s[2:3] scale_offset
	s_cbranch_vccnz .LBB28_25
; %bb.24:                               ;   in Loop: Header=BB28_22 Depth=4
	s_lshl_b64 s[52:53], s[18:19], 2
	s_ashr_i32 s35, s34, 31
	s_add_nc_u64 s[52:53], s[30:31], s[52:53]
	s_lshl_b64 s[34:35], s[34:35], 2
	global_load_b32 v4, v1, s[52:53]
	s_add_nc_u64 s[34:35], s[30:31], s[34:35]
	s_wait_loadcnt 0x0
	global_store_b32 v1, v4, s[34:35]
.LBB28_25:                              ;   in Loop: Header=BB28_22 Depth=4
	s_sub_co_i32 s13, s18, s49
	s_cmp_lt_i32 s18, s49
	s_wait_xcnt 0x0
	s_mov_b32 s34, s18
	s_cselect_b32 s35, -1, 0
	s_delay_alu instid0(SALU_CYCLE_1)
	s_and_b32 vcc_lo, exec_lo, s35
	s_mov_b32 s18, s13
	s_cbranch_vccz .LBB28_22
.LBB28_26:                              ;   in Loop: Header=BB28_18 Depth=3
	s_ashr_i32 s35, s34, 31
.LBB28_27:                              ;   in Loop: Header=BB28_18 Depth=3
	s_delay_alu instid0(SALU_CYCLE_1)
	s_lshl_b64 s[52:53], s[34:35], 3
	s_and_not1_b32 vcc_lo, exec_lo, s39
	s_add_nc_u64 s[52:53], s[2:3], s[52:53]
	s_wait_loadcnt 0x0
	global_store_b64 v1, v[2:3], s[52:53]
	s_cbranch_vccnz .LBB28_17
; %bb.28:                               ;   in Loop: Header=BB28_18 Depth=3
	s_lshl_b64 s[34:35], s[34:35], 2
	s_delay_alu instid0(SALU_CYCLE_1)
	s_add_nc_u64 s[34:35], s[30:31], s[34:35]
	global_store_b32 v1, v9, s[34:35]
	s_branch .LBB28_17
.LBB28_29:                              ;   in Loop: Header=BB28_4 Depth=1
	s_wait_xcnt 0x0
	s_or_b32 exec_lo, exec_lo, s1
	s_cmp_lt_u32 s46, 2
	s_wait_storecnt 0x0
	s_cselect_b32 s17, -1, 0
	s_barrier_signal -1
	s_and_b32 vcc_lo, exec_lo, s17
	s_barrier_wait -1
	s_cbranch_vccnz .LBB28_39
; %bb.30:                               ;   in Loop: Header=BB28_4 Depth=1
	s_add_co_i32 s13, s46, -1
	s_mov_b32 s17, -1
	s_mov_b32 s12, exec_lo
	v_cmpx_gt_u32_e64 s13, v0
	s_cbranch_execz .LBB28_38
; %bb.31:                               ;   in Loop: Header=BB28_4 Depth=1
	s_mov_b32 s17, 0
                                        ; implicit-def: $sgpr18
	s_branch .LBB28_33
.LBB28_32:                              ;   in Loop: Header=BB28_33 Depth=2
	s_or_b32 exec_lo, exec_lo, s49
	s_xor_b32 s34, s35, -1
	s_and_b32 s1, exec_lo, s1
	s_delay_alu instid0(SALU_CYCLE_1) | instskip(SKIP_2) | instid1(SALU_CYCLE_1)
	s_or_b32 s17, s1, s17
	s_and_not1_b32 s1, s18, exec_lo
	s_and_b32 s18, s34, exec_lo
	s_or_b32 s18, s1, s18
	s_and_not1_b32 exec_lo, exec_lo, s17
	s_cbranch_execz .LBB28_37
.LBB28_33:                              ;   Parent Loop BB28_4 Depth=1
                                        ; =>  This Inner Loop Header: Depth=2
	global_load_b64 v[2:3], v0, s[2:3] scale_offset
	s_mov_b32 s35, exec_lo
	s_wait_loadcnt 0x0
	v_cmp_u_f64_e64 s34, v[2:3], v[2:3]
	v_cmpx_o_f64_e32 v[2:3], v[2:3]
	s_cbranch_execz .LBB28_35
; %bb.34:                               ;   in Loop: Header=BB28_33 Depth=2
	v_lshl_add_u64 v[4:5], v[0:1], 3, s[2:3]
	s_and_not1_b32 s34, s34, exec_lo
	global_load_b64 v[4:5], v[4:5], off offset:8
	s_wait_loadcnt 0x0
	v_cmp_u_f64_e32 vcc_lo, v[4:5], v[4:5]
	v_cmp_le_f64_e64 s1, v[2:3], v[4:5]
	s_or_b32 s1, vcc_lo, s1
	s_delay_alu instid0(SALU_CYCLE_1) | instskip(NEXT) | instid1(SALU_CYCLE_1)
	s_and_b32 s1, s1, exec_lo
	s_or_b32 s34, s34, s1
.LBB28_35:                              ;   in Loop: Header=BB28_33 Depth=2
	s_or_b32 exec_lo, exec_lo, s35
	s_mov_b32 s1, -1
	s_mov_b32 s35, -1
	s_and_saveexec_b32 s49, s34
	s_cbranch_execz .LBB28_32
; %bb.36:                               ;   in Loop: Header=BB28_33 Depth=2
	v_add_nc_u32_e32 v0, s48, v0
	s_xor_b32 s35, exec_lo, -1
	s_delay_alu instid0(VALU_DEP_1)
	v_cmp_le_u32_e32 vcc_lo, s13, v0
	s_or_not1_b32 s1, vcc_lo, exec_lo
	s_branch .LBB28_32
.LBB28_37:                              ;   in Loop: Header=BB28_4 Depth=1
	s_or_b32 exec_lo, exec_lo, s17
	s_delay_alu instid0(SALU_CYCLE_1)
	s_or_not1_b32 s17, s18, exec_lo
.LBB28_38:                              ;   in Loop: Header=BB28_4 Depth=1
	s_or_b32 exec_lo, exec_lo, s12
.LBB28_39:                              ;   in Loop: Header=BB28_4 Depth=1
	s_mov_b32 s1, 0
	s_and_saveexec_b32 s2, s17
	s_cbranch_execz .LBB28_41
; %bb.40:                               ;   in Loop: Header=BB28_4 Depth=1
	s_mov_b32 s1, exec_lo
	s_barrier_signal -1
	s_barrier_wait -1
.LBB28_41:                              ;   in Loop: Header=BB28_4 Depth=1
	s_or_b32 exec_lo, exec_lo, s2
.LBB28_42:                              ;   in Loop: Header=BB28_4 Depth=1
	s_delay_alu instid0(SALU_CYCLE_1)
	s_and_not1_b32 s45, s45, exec_lo
	s_or_b32 s44, s44, exec_lo
	s_and_saveexec_b32 s3, s1
	s_cbranch_execz .LBB28_3
; %bb.43:                               ;   in Loop: Header=BB28_4 Depth=1
	s_cmp_lg_u64 s[10:11], 0
	s_mov_b32 s17, -1
	s_cselect_b32 s1, -1, 0
	s_delay_alu instid0(SALU_CYCLE_1)
	s_and_b32 s1, s1, s41
	s_barrier_signal -1
	s_and_b32 vcc_lo, exec_lo, s1
	s_mov_b32 s1, -1
	s_barrier_wait -1
	s_cbranch_vccz .LBB28_64
; %bb.44:                               ;   in Loop: Header=BB28_4 Depth=1
	s_load_b64 s[12:13], s[22:23], 0xc
	s_wait_kmcnt 0x0
	s_and_b32 s1, s12, 0xffff
	s_lshr_b32 s2, s12, 16
	v_mad_u32_u24 v0, v7, s1, v6
	s_mul_i32 s35, s2, s1
	s_and_b32 s1, s13, 0xffff
	s_cmp_lt_i32 s46, 0
	s_cselect_b32 s34, s20, s46
	v_mad_u32 v0, s35, v8, v0
	s_cmp_eq_u32 s34, 0
	s_mul_i32 s35, s35, s1
	s_cbranch_scc1 .LBB28_55
; %bb.45:                               ;   in Loop: Header=BB28_4 Depth=1
	s_delay_alu instid0(VALU_DEP_1)
	v_cmp_eq_u32_e64 s1, 0, v0
	v_cmp_gt_u32_e64 s2, s20, v0
	s_mov_b32 s18, 0
	s_branch .LBB28_47
.LBB28_46:                              ;   in Loop: Header=BB28_47 Depth=2
	s_add_co_i32 s18, s18, 1
	s_delay_alu instid0(SALU_CYCLE_1)
	s_cmp_eq_u32 s18, s34
	s_cbranch_scc1 .LBB28_55
.LBB28_47:                              ;   Parent Loop BB28_4 Depth=1
                                        ; =>  This Loop Header: Depth=2
                                        ;       Child Loop BB28_50 Depth 3
                                        ;         Child Loop BB28_54 Depth 4
	v_mov_b32_e32 v2, s18
	s_barrier_signal -1
	s_barrier_wait -1
	global_load_b32 v2, v2, s[30:31] scale_offset
	s_wait_loadcnt 0x0
	v_cmp_eq_u32_e32 vcc_lo, s18, v2
	s_cbranch_vccnz .LBB28_46
; %bb.48:                               ;   in Loop: Header=BB28_47 Depth=2
	s_lshl_b64 s[12:13], s[18:19], 2
	s_delay_alu instid0(SALU_CYCLE_1)
	s_add_nc_u64 s[12:13], s[30:31], s[12:13]
	s_branch .LBB28_50
.LBB28_49:                              ;   in Loop: Header=BB28_50 Depth=3
	s_or_b32 exec_lo, exec_lo, s46
	s_wait_storecnt 0x0
	s_barrier_signal -1
	s_barrier_wait -1
	global_load_b32 v2, v1, s[12:13]
	s_wait_loadcnt 0x0
	v_cmp_eq_u32_e32 vcc_lo, s18, v2
	s_cbranch_vccnz .LBB28_46
.LBB28_50:                              ;   Parent Loop BB28_4 Depth=1
                                        ;     Parent Loop BB28_47 Depth=2
                                        ; =>    This Loop Header: Depth=3
                                        ;         Child Loop BB28_54 Depth 4
	global_load_b32 v4, v2, s[30:31] scale_offset
	v_ashrrev_i32_e32 v3, 31, v2
	s_wait_loadcnt 0x0
	s_barrier_signal -1
	s_barrier_wait -1
	s_wait_xcnt 0x0
	s_and_saveexec_b32 s46, s1
	s_cbranch_execz .LBB28_52
; %bb.51:                               ;   in Loop: Header=BB28_50 Depth=3
	v_lshlrev_b64_e32 v[10:11], 2, v[2:3]
	s_delay_alu instid0(VALU_DEP_1)
	v_add_nc_u64_e32 v[10:11], s[30:31], v[10:11]
	s_clause 0x1
	global_store_b32 v[10:11], v2, off
	global_store_b32 v1, v4, s[12:13]
.LBB28_52:                              ;   in Loop: Header=BB28_50 Depth=3
	s_wait_xcnt 0x0
	s_or_b32 exec_lo, exec_lo, s46
	s_wait_storecnt 0x0
	s_barrier_signal -1
	s_barrier_wait -1
	s_and_saveexec_b32 s46, s2
	s_cbranch_execz .LBB28_49
; %bb.53:                               ;   in Loop: Header=BB28_50 Depth=3
	v_dual_ashrrev_i32 v5, 31, v4 :: v_dual_mov_b32 v9, v0
	v_mul_u64_e32 v[2:3], s[26:27], v[2:3]
	s_mov_b32 s47, 0
	s_delay_alu instid0(VALU_DEP_2) | instskip(NEXT) | instid1(VALU_DEP_2)
	v_mul_u64_e32 v[4:5], s[26:27], v[4:5]
	v_lshlrev_b64_e32 v[2:3], 3, v[2:3]
	s_delay_alu instid0(VALU_DEP_2) | instskip(NEXT) | instid1(VALU_DEP_2)
	v_lshlrev_b64_e32 v[4:5], 3, v[4:5]
	v_add_nc_u64_e32 v[2:3], s[10:11], v[2:3]
	s_delay_alu instid0(VALU_DEP_2)
	v_add_nc_u64_e32 v[4:5], s[10:11], v[4:5]
.LBB28_54:                              ;   Parent Loop BB28_4 Depth=1
                                        ;     Parent Loop BB28_47 Depth=2
                                        ;       Parent Loop BB28_50 Depth=3
                                        ; =>      This Inner Loop Header: Depth=4
	s_delay_alu instid0(VALU_DEP_1) | instskip(NEXT) | instid1(VALU_DEP_2)
	v_readfirstlane_b32 s50, v4
	v_readfirstlane_b32 s51, v5
	s_delay_alu instid0(VALU_DEP_4)
	v_readfirstlane_b32 s48, v2
	v_readfirstlane_b32 s49, v3
	s_clause 0x1
	global_load_b64 v[10:11], v9, s[50:51] scale_offset
	global_load_b64 v[12:13], v9, s[48:49] scale_offset
	s_wait_loadcnt 0x1
	global_store_b64 v9, v[10:11], s[48:49] scale_offset
	s_wait_loadcnt 0x0
	global_store_b64 v9, v[12:13], s[50:51] scale_offset
	s_wait_xcnt 0x0
	v_add_nc_u32_e32 v9, s35, v9
	s_delay_alu instid0(VALU_DEP_1) | instskip(SKIP_1) | instid1(SALU_CYCLE_1)
	v_cmp_le_u32_e32 vcc_lo, s20, v9
	s_or_b32 s47, vcc_lo, s47
	s_and_not1_b32 exec_lo, exec_lo, s47
	s_cbranch_execnz .LBB28_54
	s_branch .LBB28_49
.LBB28_55:                              ;   in Loop: Header=BB28_4 Depth=1
	s_mov_b32 s2, -1
	s_mov_b32 s1, exec_lo
	s_barrier_signal -1
	s_barrier_wait -1
	s_delay_alu instid0(VALU_DEP_1)
	v_cmpx_gt_u32_e64 s34, v0
	s_cbranch_execz .LBB28_61
; %bb.56:                               ;   in Loop: Header=BB28_4 Depth=1
	s_mov_b32 s2, 0
                                        ; implicit-def: $sgpr10
                                        ; implicit-def: $sgpr12
                                        ; implicit-def: $sgpr11
	s_branch .LBB28_58
.LBB28_57:                              ;   in Loop: Header=BB28_58 Depth=2
	s_or_b32 exec_lo, exec_lo, s13
	s_xor_b32 s13, s11, -1
	s_and_b32 s18, exec_lo, s12
	s_delay_alu instid0(SALU_CYCLE_1) | instskip(SKIP_2) | instid1(SALU_CYCLE_1)
	s_or_b32 s2, s18, s2
	s_and_not1_b32 s10, s10, exec_lo
	s_and_b32 s13, s13, exec_lo
	s_or_b32 s10, s10, s13
	s_and_not1_b32 exec_lo, exec_lo, s2
	s_cbranch_execz .LBB28_60
.LBB28_58:                              ;   Parent Loop BB28_4 Depth=1
                                        ; =>  This Inner Loop Header: Depth=2
	global_load_b32 v2, v0, s[30:31] scale_offset
	s_or_b32 s11, s11, exec_lo
	s_or_b32 s12, s12, exec_lo
	s_mov_b32 s13, exec_lo
	s_wait_loadcnt 0x0
	v_cmpx_eq_u32_e64 v0, v2
	s_cbranch_execz .LBB28_57
; %bb.59:                               ;   in Loop: Header=BB28_58 Depth=2
	v_add_nc_u32_e32 v0, s35, v0
	s_and_not1_b32 s12, s12, exec_lo
	s_and_not1_b32 s11, s11, exec_lo
	s_delay_alu instid0(VALU_DEP_1) | instskip(SKIP_1) | instid1(SALU_CYCLE_1)
	v_cmp_le_u32_e32 vcc_lo, s34, v0
	s_and_b32 s18, vcc_lo, exec_lo
	s_or_b32 s12, s12, s18
	s_branch .LBB28_57
.LBB28_60:                              ;   in Loop: Header=BB28_4 Depth=1
	s_or_b32 exec_lo, exec_lo, s2
	s_delay_alu instid0(SALU_CYCLE_1)
	s_or_not1_b32 s2, s10, exec_lo
.LBB28_61:                              ;   in Loop: Header=BB28_4 Depth=1
	s_or_b32 exec_lo, exec_lo, s1
	s_mov_b32 s1, 0
	s_and_saveexec_b32 s10, s2
	s_cbranch_execz .LBB28_63
; %bb.62:                               ;   in Loop: Header=BB28_4 Depth=1
	s_mov_b32 s1, exec_lo
	s_barrier_signal -1
	s_barrier_wait -1
.LBB28_63:                              ;   in Loop: Header=BB28_4 Depth=1
	s_or_b32 exec_lo, exec_lo, s10
.LBB28_64:                              ;   in Loop: Header=BB28_4 Depth=1
	s_mov_b32 s10, -1
	s_and_saveexec_b32 s2, s1
	s_cbranch_execz .LBB28_2
; %bb.65:                               ;   in Loop: Header=BB28_4 Depth=1
	s_add_co_i32 s16, s16, s36
	s_delay_alu instid0(SALU_CYCLE_1)
	s_cmp_ge_i32 s16, s33
	s_barrier_signal -1
	s_cselect_b32 s1, -1, 0
	s_xor_b32 s10, exec_lo, -1
	s_or_not1_b32 s17, s1, exec_lo
	s_barrier_wait -1
	s_branch .LBB28_2
.LBB28_66:
	s_or_b32 exec_lo, exec_lo, s42
	s_xor_b32 s0, s43, -1
	s_mov_b32 s21, 0
	s_and_saveexec_b32 s1, s0
	s_delay_alu instid0(SALU_CYCLE_1)
	s_xor_b32 s24, exec_lo, s1
	s_cbranch_execnz .LBB28_71
; %bb.67:
	s_and_not1_saveexec_b32 s24, s24
	s_cbranch_execnz .LBB28_74
.LBB28_68:
	s_or_b32 exec_lo, exec_lo, s24
	s_and_saveexec_b32 s0, s21
.LBB28_69:
	; divergent unreachable
.LBB28_70:
	s_endpgm
.LBB28_71:
	s_mov_b32 s0, 0
	s_and_saveexec_b32 s1, s40
	s_delay_alu instid0(SALU_CYCLE_1)
	s_xor_b32 s21, exec_lo, s1
	s_cbranch_execz .LBB28_73
; %bb.72:
	s_get_pc_i64 s[0:1]
	s_add_nc_u64 s[0:1], s[0:1], .str.8@rel64+4
	s_get_pc_i64 s[2:3]
	s_add_nc_u64 s[2:3], s[2:3], __PRETTY_FUNCTION__._ZN9rocsolver6v33100L12permute_swapIdiEEvT0_PT_S2_PS2_S2_@rel64+4
	v_dual_mov_b32 v0, s0 :: v_dual_mov_b32 v1, s1
	v_dual_mov_b32 v2, 0x25b :: v_dual_mov_b32 v3, s2
	v_mov_b32_e32 v4, s3
	s_get_pc_i64 s[4:5]
	s_add_nc_u64 s[4:5], s[4:5], __assert_fail@rel64+4
	s_mov_b64 s[8:9], s[22:23]
	s_swap_pc_i64 s[30:31], s[4:5]
	s_mov_b32 s0, exec_lo
.LBB28_73:
	s_or_b32 exec_lo, exec_lo, s21
	s_delay_alu instid0(SALU_CYCLE_1)
	s_and_b32 s21, s0, exec_lo
	s_and_not1_saveexec_b32 s24, s24
	s_cbranch_execz .LBB28_68
.LBB28_74:
	s_get_pc_i64 s[0:1]
	s_add_nc_u64 s[0:1], s[0:1], .str.5@rel64+4
	s_get_pc_i64 s[2:3]
	s_add_nc_u64 s[2:3], s[2:3], __PRETTY_FUNCTION__._ZN9rocsolver6v33100L20shell_sort_ascendingIdiEEvT0_PT_PS2_@rel64+4
	v_dual_mov_b32 v0, s0 :: v_dual_mov_b32 v1, s1
	v_dual_mov_b32 v2, 0xea :: v_dual_mov_b32 v3, s2
	v_mov_b32_e32 v4, s3
	s_get_pc_i64 s[4:5]
	s_add_nc_u64 s[4:5], s[4:5], __assert_fail@rel64+4
	s_mov_b64 s[8:9], s[22:23]
	s_swap_pc_i64 s[30:31], s[4:5]
	s_or_b32 s21, s21, exec_lo
	s_or_b32 exec_lo, exec_lo, s24
	s_and_saveexec_b32 s0, s21
	s_cbranch_execnz .LBB28_69
	s_branch .LBB28_70
	.section	.rodata,"a",@progbits
	.p2align	6, 0x0
	.amdhsa_kernel _ZN9rocsolver6v33100L11stedcx_sortIddPdEEviPT0_lT1_iiliPiS6_
		.amdhsa_group_segment_fixed_size 0
		.amdhsa_private_segment_fixed_size 64
		.amdhsa_kernarg_size 328
		.amdhsa_user_sgpr_count 2
		.amdhsa_user_sgpr_dispatch_ptr 0
		.amdhsa_user_sgpr_queue_ptr 0
		.amdhsa_user_sgpr_kernarg_segment_ptr 1
		.amdhsa_user_sgpr_dispatch_id 0
		.amdhsa_user_sgpr_kernarg_preload_length 0
		.amdhsa_user_sgpr_kernarg_preload_offset 0
		.amdhsa_user_sgpr_private_segment_size 0
		.amdhsa_wavefront_size32 1
		.amdhsa_uses_dynamic_stack 0
		.amdhsa_enable_private_segment 1
		.amdhsa_system_sgpr_workgroup_id_x 1
		.amdhsa_system_sgpr_workgroup_id_y 0
		.amdhsa_system_sgpr_workgroup_id_z 1
		.amdhsa_system_sgpr_workgroup_info 0
		.amdhsa_system_vgpr_workitem_id 2
		.amdhsa_next_free_vgpr 53
		.amdhsa_next_free_sgpr 54
		.amdhsa_named_barrier_count 0
		.amdhsa_reserve_vcc 1
		.amdhsa_float_round_mode_32 0
		.amdhsa_float_round_mode_16_64 0
		.amdhsa_float_denorm_mode_32 3
		.amdhsa_float_denorm_mode_16_64 3
		.amdhsa_fp16_overflow 0
		.amdhsa_memory_ordered 1
		.amdhsa_forward_progress 1
		.amdhsa_inst_pref_size 19
		.amdhsa_round_robin_scheduling 0
		.amdhsa_exception_fp_ieee_invalid_op 0
		.amdhsa_exception_fp_denorm_src 0
		.amdhsa_exception_fp_ieee_div_zero 0
		.amdhsa_exception_fp_ieee_overflow 0
		.amdhsa_exception_fp_ieee_underflow 0
		.amdhsa_exception_fp_ieee_inexact 0
		.amdhsa_exception_int_div_zero 0
	.end_amdhsa_kernel
	.section	.text._ZN9rocsolver6v33100L11stedcx_sortIddPdEEviPT0_lT1_iiliPiS6_,"axG",@progbits,_ZN9rocsolver6v33100L11stedcx_sortIddPdEEviPT0_lT1_iiliPiS6_,comdat
.Lfunc_end28:
	.size	_ZN9rocsolver6v33100L11stedcx_sortIddPdEEviPT0_lT1_iiliPiS6_, .Lfunc_end28-_ZN9rocsolver6v33100L11stedcx_sortIddPdEEviPT0_lT1_iiliPiS6_
                                        ; -- End function
	.set _ZN9rocsolver6v33100L11stedcx_sortIddPdEEviPT0_lT1_iiliPiS6_.num_vgpr, max(14, .L__assert_fail.num_vgpr)
	.set _ZN9rocsolver6v33100L11stedcx_sortIddPdEEviPT0_lT1_iiliPiS6_.num_agpr, max(0, .L__assert_fail.num_agpr)
	.set _ZN9rocsolver6v33100L11stedcx_sortIddPdEEviPT0_lT1_iiliPiS6_.numbered_sgpr, max(54, .L__assert_fail.numbered_sgpr)
	.set _ZN9rocsolver6v33100L11stedcx_sortIddPdEEviPT0_lT1_iiliPiS6_.num_named_barrier, max(0, .L__assert_fail.num_named_barrier)
	.set _ZN9rocsolver6v33100L11stedcx_sortIddPdEEviPT0_lT1_iiliPiS6_.private_seg_size, 0+max(.L__assert_fail.private_seg_size)
	.set _ZN9rocsolver6v33100L11stedcx_sortIddPdEEviPT0_lT1_iiliPiS6_.uses_vcc, or(1, .L__assert_fail.uses_vcc)
	.set _ZN9rocsolver6v33100L11stedcx_sortIddPdEEviPT0_lT1_iiliPiS6_.uses_flat_scratch, or(0, .L__assert_fail.uses_flat_scratch)
	.set _ZN9rocsolver6v33100L11stedcx_sortIddPdEEviPT0_lT1_iiliPiS6_.has_dyn_sized_stack, or(0, .L__assert_fail.has_dyn_sized_stack)
	.set _ZN9rocsolver6v33100L11stedcx_sortIddPdEEviPT0_lT1_iiliPiS6_.has_recursion, or(0, .L__assert_fail.has_recursion)
	.set _ZN9rocsolver6v33100L11stedcx_sortIddPdEEviPT0_lT1_iiliPiS6_.has_indirect_call, or(0, .L__assert_fail.has_indirect_call)
	.section	.AMDGPU.csdata,"",@progbits
; Kernel info:
; codeLenInByte = 2416
; TotalNumSgprs: 56
; NumVgprs: 53
; ScratchSize: 64
; MemoryBound: 0
; FloatMode: 240
; IeeeMode: 1
; LDSByteSize: 0 bytes/workgroup (compile time only)
; SGPRBlocks: 0
; VGPRBlocks: 3
; NumSGPRsForWavesPerEU: 56
; NumVGPRsForWavesPerEU: 53
; NamedBarCnt: 0
; Occupancy: 16
; WaveLimiterHint : 1
; COMPUTE_PGM_RSRC2:SCRATCH_EN: 1
; COMPUTE_PGM_RSRC2:USER_SGPR: 2
; COMPUTE_PGM_RSRC2:TRAP_HANDLER: 0
; COMPUTE_PGM_RSRC2:TGID_X_EN: 1
; COMPUTE_PGM_RSRC2:TGID_Y_EN: 0
; COMPUTE_PGM_RSRC2:TGID_Z_EN: 1
; COMPUTE_PGM_RSRC2:TIDIG_COMP_CNT: 2
	.section	.text._ZN9rocsolver6v33100L16reset_batch_infoI19rocblas_complex_numIfEiiPS3_EEvT2_lT0_T1_,"axG",@progbits,_ZN9rocsolver6v33100L16reset_batch_infoI19rocblas_complex_numIfEiiPS3_EEvT2_lT0_T1_,comdat
	.globl	_ZN9rocsolver6v33100L16reset_batch_infoI19rocblas_complex_numIfEiiPS3_EEvT2_lT0_T1_ ; -- Begin function _ZN9rocsolver6v33100L16reset_batch_infoI19rocblas_complex_numIfEiiPS3_EEvT2_lT0_T1_
	.p2align	8
	.type	_ZN9rocsolver6v33100L16reset_batch_infoI19rocblas_complex_numIfEiiPS3_EEvT2_lT0_T1_,@function
_ZN9rocsolver6v33100L16reset_batch_infoI19rocblas_complex_numIfEiiPS3_EEvT2_lT0_T1_: ; @_ZN9rocsolver6v33100L16reset_batch_infoI19rocblas_complex_numIfEiiPS3_EEvT2_lT0_T1_
; %bb.0:
	s_clause 0x1
	s_load_b32 s5, s[0:1], 0x24
	s_load_b64 s[2:3], s[0:1], 0x10
	s_bfe_u32 s4, ttmp6, 0x4000c
	s_and_b32 s6, ttmp6, 15
	s_add_co_i32 s7, s4, 1
	s_getreg_b32 s4, hwreg(HW_REG_IB_STS2, 6, 4)
	s_mul_i32 s7, ttmp9, s7
	s_delay_alu instid0(SALU_CYCLE_1) | instskip(SKIP_4) | instid1(SALU_CYCLE_1)
	s_add_co_i32 s6, s6, s7
	s_wait_kmcnt 0x0
	s_and_b32 s5, s5, 0xffff
	s_cmp_eq_u32 s4, 0
	s_cselect_b32 s6, ttmp9, s6
	v_mad_u32 v0, s6, s5, v0
	s_delay_alu instid0(VALU_DEP_1)
	v_cmp_gt_i32_e32 vcc_lo, s2, v0
	s_and_saveexec_b32 s2, vcc_lo
	s_cbranch_execz .LBB29_2
; %bb.1:
	s_load_b128 s[8:11], s[0:1], 0x0
	s_wait_xcnt 0x0
	s_bfe_u32 s0, ttmp6, 0x40010
	s_bfe_u32 s1, ttmp6, 0x40004
	s_add_co_i32 s0, s0, 1
	s_cvt_f32_i32 s2, s3
	s_mul_i32 s0, ttmp7, s0
	v_mov_b32_e32 v3, 0
	s_add_co_i32 s1, s1, s0
	s_cmp_eq_u32 s4, 0
	v_mov_b32_e32 v2, s2
	s_cselect_b32 s0, ttmp7, s1
	s_delay_alu instid0(SALU_CYCLE_1) | instskip(SKIP_2) | instid1(SALU_CYCLE_1)
	s_ashr_i32 s1, s0, 31
	s_wait_kmcnt 0x0
	s_mul_u64 s[0:1], s[10:11], s[0:1]
	s_lshl_b64 s[0:1], s[0:1], 3
	s_delay_alu instid0(SALU_CYCLE_1)
	s_add_nc_u64 s[0:1], s[8:9], s[0:1]
	global_store_b64 v0, v[2:3], s[0:1] scale_offset
.LBB29_2:
	s_endpgm
	.section	.rodata,"a",@progbits
	.p2align	6, 0x0
	.amdhsa_kernel _ZN9rocsolver6v33100L16reset_batch_infoI19rocblas_complex_numIfEiiPS3_EEvT2_lT0_T1_
		.amdhsa_group_segment_fixed_size 0
		.amdhsa_private_segment_fixed_size 0
		.amdhsa_kernarg_size 280
		.amdhsa_user_sgpr_count 2
		.amdhsa_user_sgpr_dispatch_ptr 0
		.amdhsa_user_sgpr_queue_ptr 0
		.amdhsa_user_sgpr_kernarg_segment_ptr 1
		.amdhsa_user_sgpr_dispatch_id 0
		.amdhsa_user_sgpr_kernarg_preload_length 0
		.amdhsa_user_sgpr_kernarg_preload_offset 0
		.amdhsa_user_sgpr_private_segment_size 0
		.amdhsa_wavefront_size32 1
		.amdhsa_uses_dynamic_stack 0
		.amdhsa_enable_private_segment 0
		.amdhsa_system_sgpr_workgroup_id_x 1
		.amdhsa_system_sgpr_workgroup_id_y 1
		.amdhsa_system_sgpr_workgroup_id_z 0
		.amdhsa_system_sgpr_workgroup_info 0
		.amdhsa_system_vgpr_workitem_id 0
		.amdhsa_next_free_vgpr 4
		.amdhsa_next_free_sgpr 12
		.amdhsa_named_barrier_count 0
		.amdhsa_reserve_vcc 1
		.amdhsa_float_round_mode_32 0
		.amdhsa_float_round_mode_16_64 0
		.amdhsa_float_denorm_mode_32 3
		.amdhsa_float_denorm_mode_16_64 3
		.amdhsa_fp16_overflow 0
		.amdhsa_memory_ordered 1
		.amdhsa_forward_progress 1
		.amdhsa_inst_pref_size 2
		.amdhsa_round_robin_scheduling 0
		.amdhsa_exception_fp_ieee_invalid_op 0
		.amdhsa_exception_fp_denorm_src 0
		.amdhsa_exception_fp_ieee_div_zero 0
		.amdhsa_exception_fp_ieee_overflow 0
		.amdhsa_exception_fp_ieee_underflow 0
		.amdhsa_exception_fp_ieee_inexact 0
		.amdhsa_exception_int_div_zero 0
	.end_amdhsa_kernel
	.section	.text._ZN9rocsolver6v33100L16reset_batch_infoI19rocblas_complex_numIfEiiPS3_EEvT2_lT0_T1_,"axG",@progbits,_ZN9rocsolver6v33100L16reset_batch_infoI19rocblas_complex_numIfEiiPS3_EEvT2_lT0_T1_,comdat
.Lfunc_end29:
	.size	_ZN9rocsolver6v33100L16reset_batch_infoI19rocblas_complex_numIfEiiPS3_EEvT2_lT0_T1_, .Lfunc_end29-_ZN9rocsolver6v33100L16reset_batch_infoI19rocblas_complex_numIfEiiPS3_EEvT2_lT0_T1_
                                        ; -- End function
	.set _ZN9rocsolver6v33100L16reset_batch_infoI19rocblas_complex_numIfEiiPS3_EEvT2_lT0_T1_.num_vgpr, 4
	.set _ZN9rocsolver6v33100L16reset_batch_infoI19rocblas_complex_numIfEiiPS3_EEvT2_lT0_T1_.num_agpr, 0
	.set _ZN9rocsolver6v33100L16reset_batch_infoI19rocblas_complex_numIfEiiPS3_EEvT2_lT0_T1_.numbered_sgpr, 12
	.set _ZN9rocsolver6v33100L16reset_batch_infoI19rocblas_complex_numIfEiiPS3_EEvT2_lT0_T1_.num_named_barrier, 0
	.set _ZN9rocsolver6v33100L16reset_batch_infoI19rocblas_complex_numIfEiiPS3_EEvT2_lT0_T1_.private_seg_size, 0
	.set _ZN9rocsolver6v33100L16reset_batch_infoI19rocblas_complex_numIfEiiPS3_EEvT2_lT0_T1_.uses_vcc, 1
	.set _ZN9rocsolver6v33100L16reset_batch_infoI19rocblas_complex_numIfEiiPS3_EEvT2_lT0_T1_.uses_flat_scratch, 0
	.set _ZN9rocsolver6v33100L16reset_batch_infoI19rocblas_complex_numIfEiiPS3_EEvT2_lT0_T1_.has_dyn_sized_stack, 0
	.set _ZN9rocsolver6v33100L16reset_batch_infoI19rocblas_complex_numIfEiiPS3_EEvT2_lT0_T1_.has_recursion, 0
	.set _ZN9rocsolver6v33100L16reset_batch_infoI19rocblas_complex_numIfEiiPS3_EEvT2_lT0_T1_.has_indirect_call, 0
	.section	.AMDGPU.csdata,"",@progbits
; Kernel info:
; codeLenInByte = 200
; TotalNumSgprs: 14
; NumVgprs: 4
; ScratchSize: 0
; MemoryBound: 0
; FloatMode: 240
; IeeeMode: 1
; LDSByteSize: 0 bytes/workgroup (compile time only)
; SGPRBlocks: 0
; VGPRBlocks: 0
; NumSGPRsForWavesPerEU: 14
; NumVGPRsForWavesPerEU: 4
; NamedBarCnt: 0
; Occupancy: 16
; WaveLimiterHint : 0
; COMPUTE_PGM_RSRC2:SCRATCH_EN: 0
; COMPUTE_PGM_RSRC2:USER_SGPR: 2
; COMPUTE_PGM_RSRC2:TRAP_HANDLER: 0
; COMPUTE_PGM_RSRC2:TGID_X_EN: 1
; COMPUTE_PGM_RSRC2:TGID_Y_EN: 1
; COMPUTE_PGM_RSRC2:TGID_Z_EN: 0
; COMPUTE_PGM_RSRC2:TIDIG_COMP_CNT: 0
	.section	.text._ZN9rocsolver6v33100L10init_identI19rocblas_complex_numIfEPS3_EEviiT0_iil,"axG",@progbits,_ZN9rocsolver6v33100L10init_identI19rocblas_complex_numIfEPS3_EEviiT0_iil,comdat
	.globl	_ZN9rocsolver6v33100L10init_identI19rocblas_complex_numIfEPS3_EEviiT0_iil ; -- Begin function _ZN9rocsolver6v33100L10init_identI19rocblas_complex_numIfEPS3_EEviiT0_iil
	.p2align	8
	.type	_ZN9rocsolver6v33100L10init_identI19rocblas_complex_numIfEPS3_EEviiT0_iil,@function
_ZN9rocsolver6v33100L10init_identI19rocblas_complex_numIfEPS3_EEviiT0_iil: ; @_ZN9rocsolver6v33100L10init_identI19rocblas_complex_numIfEPS3_EEviiT0_iil
; %bb.0:
	s_clause 0x1
	s_load_b32 s5, s[0:1], 0x2c
	s_load_b64 s[2:3], s[0:1], 0x0
	s_bfe_u32 s7, ttmp6, 0x40010
	s_bfe_u32 s10, ttmp6, 0x4000c
	s_and_b32 s6, ttmp7, 0xffff
	s_add_co_i32 s7, s7, 1
	s_add_co_i32 s10, s10, 1
	s_bfe_u32 s8, ttmp6, 0x40004
	s_and_b32 s9, ttmp6, 15
	s_mul_i32 s7, s6, s7
	s_mul_i32 s10, ttmp9, s10
	s_getreg_b32 s4, hwreg(HW_REG_IB_STS2, 6, 4)
	v_and_b32_e32 v1, 0x3ff, v0
	v_bfe_u32 v0, v0, 10, 10
	s_add_co_i32 s8, s8, s7
	s_add_co_i32 s9, s9, s10
	s_wait_kmcnt 0x0
	s_lshr_b32 s7, s5, 16
	s_and_b32 s5, s5, 0xffff
	s_cmp_eq_u32 s4, 0
	s_cselect_b32 s9, ttmp9, s9
	s_cselect_b32 s6, s6, s8
	v_mad_u32 v3, s9, s5, v1
	v_mad_u32 v0, s6, s7, v0
	s_delay_alu instid0(VALU_DEP_2) | instskip(NEXT) | instid1(VALU_DEP_2)
	v_cmp_gt_u32_e32 vcc_lo, s2, v3
	v_cmp_gt_u32_e64 s2, s3, v0
	s_and_b32 s2, vcc_lo, s2
	s_delay_alu instid0(SALU_CYCLE_1)
	s_and_saveexec_b32 s3, s2
	s_cbranch_execz .LBB30_6
; %bb.1:
	s_load_b64 s[2:3], s[0:1], 0x10
	s_mov_b32 s5, exec_lo
                                        ; implicit-def: $vgpr2
	v_cmpx_ne_u32_e64 v3, v0
	s_xor_b32 s5, exec_lo, s5
	s_cbranch_execz .LBB30_3
; %bb.2:
	s_wait_kmcnt 0x0
	v_mad_u32 v2, v0, s3, v3
                                        ; implicit-def: $vgpr3
.LBB30_3:
	s_or_saveexec_b32 s5, s5
	v_dual_mov_b32 v1, 0 :: v_dual_mov_b32 v0, 0
	s_xor_b32 exec_lo, exec_lo, s5
	s_cbranch_execz .LBB30_5
; %bb.4:
	s_wait_kmcnt 0x0
	v_mad_u32 v2, v3, s3, v3
	v_mov_b32_e32 v0, 1.0
.LBB30_5:
	s_or_b32 exec_lo, exec_lo, s5
	s_clause 0x1
	s_load_b64 s[6:7], s[0:1], 0x18
	s_load_b64 s[8:9], s[0:1], 0x8
	s_wait_xcnt 0x0
	s_bfe_u32 s0, ttmp6, 0x40014
	s_lshr_b32 s5, ttmp7, 16
	s_add_co_i32 s0, s0, 1
	s_bfe_u32 s1, ttmp6, 0x40008
	s_mul_i32 s0, s5, s0
	s_wait_kmcnt 0x0
	s_ashr_i32 s3, s2, 31
	s_add_co_i32 s0, s1, s0
	s_cmp_eq_u32 s4, 0
	s_mov_b32 s1, 0
	s_cselect_b32 s0, s5, s0
	s_lshl_b64 s[2:3], s[2:3], 3
	s_mul_u64 s[0:1], s[6:7], s[0:1]
	s_delay_alu instid0(SALU_CYCLE_1) | instskip(NEXT) | instid1(SALU_CYCLE_1)
	s_lshl_b64 s[0:1], s[0:1], 3
	s_add_nc_u64 s[0:1], s[8:9], s[0:1]
	s_delay_alu instid0(SALU_CYCLE_1)
	s_add_nc_u64 s[0:1], s[0:1], s[2:3]
	global_store_b64 v2, v[0:1], s[0:1] scale_offset
.LBB30_6:
	s_endpgm
	.section	.rodata,"a",@progbits
	.p2align	6, 0x0
	.amdhsa_kernel _ZN9rocsolver6v33100L10init_identI19rocblas_complex_numIfEPS3_EEviiT0_iil
		.amdhsa_group_segment_fixed_size 0
		.amdhsa_private_segment_fixed_size 0
		.amdhsa_kernarg_size 288
		.amdhsa_user_sgpr_count 2
		.amdhsa_user_sgpr_dispatch_ptr 0
		.amdhsa_user_sgpr_queue_ptr 0
		.amdhsa_user_sgpr_kernarg_segment_ptr 1
		.amdhsa_user_sgpr_dispatch_id 0
		.amdhsa_user_sgpr_kernarg_preload_length 0
		.amdhsa_user_sgpr_kernarg_preload_offset 0
		.amdhsa_user_sgpr_private_segment_size 0
		.amdhsa_wavefront_size32 1
		.amdhsa_uses_dynamic_stack 0
		.amdhsa_enable_private_segment 0
		.amdhsa_system_sgpr_workgroup_id_x 1
		.amdhsa_system_sgpr_workgroup_id_y 1
		.amdhsa_system_sgpr_workgroup_id_z 1
		.amdhsa_system_sgpr_workgroup_info 0
		.amdhsa_system_vgpr_workitem_id 1
		.amdhsa_next_free_vgpr 4
		.amdhsa_next_free_sgpr 11
		.amdhsa_named_barrier_count 0
		.amdhsa_reserve_vcc 1
		.amdhsa_float_round_mode_32 0
		.amdhsa_float_round_mode_16_64 0
		.amdhsa_float_denorm_mode_32 3
		.amdhsa_float_denorm_mode_16_64 3
		.amdhsa_fp16_overflow 0
		.amdhsa_memory_ordered 1
		.amdhsa_forward_progress 1
		.amdhsa_inst_pref_size 3
		.amdhsa_round_robin_scheduling 0
		.amdhsa_exception_fp_ieee_invalid_op 0
		.amdhsa_exception_fp_denorm_src 0
		.amdhsa_exception_fp_ieee_div_zero 0
		.amdhsa_exception_fp_ieee_overflow 0
		.amdhsa_exception_fp_ieee_underflow 0
		.amdhsa_exception_fp_ieee_inexact 0
		.amdhsa_exception_int_div_zero 0
	.end_amdhsa_kernel
	.section	.text._ZN9rocsolver6v33100L10init_identI19rocblas_complex_numIfEPS3_EEviiT0_iil,"axG",@progbits,_ZN9rocsolver6v33100L10init_identI19rocblas_complex_numIfEPS3_EEviiT0_iil,comdat
.Lfunc_end30:
	.size	_ZN9rocsolver6v33100L10init_identI19rocblas_complex_numIfEPS3_EEviiT0_iil, .Lfunc_end30-_ZN9rocsolver6v33100L10init_identI19rocblas_complex_numIfEPS3_EEviiT0_iil
                                        ; -- End function
	.set _ZN9rocsolver6v33100L10init_identI19rocblas_complex_numIfEPS3_EEviiT0_iil.num_vgpr, 4
	.set _ZN9rocsolver6v33100L10init_identI19rocblas_complex_numIfEPS3_EEviiT0_iil.num_agpr, 0
	.set _ZN9rocsolver6v33100L10init_identI19rocblas_complex_numIfEPS3_EEviiT0_iil.numbered_sgpr, 11
	.set _ZN9rocsolver6v33100L10init_identI19rocblas_complex_numIfEPS3_EEviiT0_iil.num_named_barrier, 0
	.set _ZN9rocsolver6v33100L10init_identI19rocblas_complex_numIfEPS3_EEviiT0_iil.private_seg_size, 0
	.set _ZN9rocsolver6v33100L10init_identI19rocblas_complex_numIfEPS3_EEviiT0_iil.uses_vcc, 1
	.set _ZN9rocsolver6v33100L10init_identI19rocblas_complex_numIfEPS3_EEviiT0_iil.uses_flat_scratch, 0
	.set _ZN9rocsolver6v33100L10init_identI19rocblas_complex_numIfEPS3_EEviiT0_iil.has_dyn_sized_stack, 0
	.set _ZN9rocsolver6v33100L10init_identI19rocblas_complex_numIfEPS3_EEviiT0_iil.has_recursion, 0
	.set _ZN9rocsolver6v33100L10init_identI19rocblas_complex_numIfEPS3_EEviiT0_iil.has_indirect_call, 0
	.section	.AMDGPU.csdata,"",@progbits
; Kernel info:
; codeLenInByte = 376
; TotalNumSgprs: 13
; NumVgprs: 4
; ScratchSize: 0
; MemoryBound: 0
; FloatMode: 240
; IeeeMode: 1
; LDSByteSize: 0 bytes/workgroup (compile time only)
; SGPRBlocks: 0
; VGPRBlocks: 0
; NumSGPRsForWavesPerEU: 13
; NumVGPRsForWavesPerEU: 4
; NamedBarCnt: 0
; Occupancy: 16
; WaveLimiterHint : 0
; COMPUTE_PGM_RSRC2:SCRATCH_EN: 0
; COMPUTE_PGM_RSRC2:USER_SGPR: 2
; COMPUTE_PGM_RSRC2:TRAP_HANDLER: 0
; COMPUTE_PGM_RSRC2:TGID_X_EN: 1
; COMPUTE_PGM_RSRC2:TGID_Y_EN: 1
; COMPUTE_PGM_RSRC2:TGID_Z_EN: 1
; COMPUTE_PGM_RSRC2:TIDIG_COMP_CNT: 1
	.section	.text._ZN9rocsolver6v33100L8copy_matI19rocblas_complex_numIfEfLb1EPS3_TnNSt9enable_ifIX18rocblas_is_complexIT_EEiE4typeELi0EEEvNS0_17copymat_directionEiiT2_iilPT0_13rocblas_fill_17rocblas_diagonal_,"axG",@progbits,_ZN9rocsolver6v33100L8copy_matI19rocblas_complex_numIfEfLb1EPS3_TnNSt9enable_ifIX18rocblas_is_complexIT_EEiE4typeELi0EEEvNS0_17copymat_directionEiiT2_iilPT0_13rocblas_fill_17rocblas_diagonal_,comdat
	.globl	_ZN9rocsolver6v33100L8copy_matI19rocblas_complex_numIfEfLb1EPS3_TnNSt9enable_ifIX18rocblas_is_complexIT_EEiE4typeELi0EEEvNS0_17copymat_directionEiiT2_iilPT0_13rocblas_fill_17rocblas_diagonal_ ; -- Begin function _ZN9rocsolver6v33100L8copy_matI19rocblas_complex_numIfEfLb1EPS3_TnNSt9enable_ifIX18rocblas_is_complexIT_EEiE4typeELi0EEEvNS0_17copymat_directionEiiT2_iilPT0_13rocblas_fill_17rocblas_diagonal_
	.p2align	8
	.type	_ZN9rocsolver6v33100L8copy_matI19rocblas_complex_numIfEfLb1EPS3_TnNSt9enable_ifIX18rocblas_is_complexIT_EEiE4typeELi0EEEvNS0_17copymat_directionEiiT2_iilPT0_13rocblas_fill_17rocblas_diagonal_,@function
_ZN9rocsolver6v33100L8copy_matI19rocblas_complex_numIfEfLb1EPS3_TnNSt9enable_ifIX18rocblas_is_complexIT_EEiE4typeELi0EEEvNS0_17copymat_directionEiiT2_iilPT0_13rocblas_fill_17rocblas_diagonal_: ; @_ZN9rocsolver6v33100L8copy_matI19rocblas_complex_numIfEfLb1EPS3_TnNSt9enable_ifIX18rocblas_is_complexIT_EEiE4typeELi0EEEvNS0_17copymat_directionEiiT2_iilPT0_13rocblas_fill_17rocblas_diagonal_
; %bb.0:
	s_clause 0x1
	s_load_b32 s2, s[0:1], 0x44
	s_load_b96 s[12:14], s[0:1], 0x0
	s_bfe_u32 s5, ttmp6, 0x4000c
	s_bfe_u32 s7, ttmp6, 0x40010
	s_and_b32 s6, ttmp7, 0xffff
	s_add_co_i32 s5, s5, 1
	s_add_co_i32 s7, s7, 1
	s_and_b32 s4, ttmp6, 15
	s_bfe_u32 s8, ttmp6, 0x40004
	s_mul_i32 s5, ttmp9, s5
	s_mul_i32 s7, s6, s7
	s_getreg_b32 s3, hwreg(HW_REG_IB_STS2, 6, 4)
	v_bfe_u32 v1, v0, 10, 10
	v_and_b32_e32 v0, 0x3ff, v0
	s_add_co_i32 s4, s4, s5
	s_add_co_i32 s8, s8, s7
	s_wait_kmcnt 0x0
	s_lshr_b32 s5, s2, 16
	s_and_b32 s2, s2, 0xffff
	s_cmp_eq_u32 s3, 0
	s_cselect_b32 s4, ttmp9, s4
	s_cselect_b32 s6, s6, s8
	v_mad_u32 v0, s4, s2, v0
	v_mad_u32 v1, s6, s5, v1
	s_delay_alu instid0(VALU_DEP_2) | instskip(NEXT) | instid1(VALU_DEP_2)
	v_cmp_gt_u32_e32 vcc_lo, s13, v0
	v_cmp_gt_u32_e64 s2, s14, v1
	s_and_b32 s2, s2, vcc_lo
	s_delay_alu instid0(SALU_CYCLE_1)
	s_and_saveexec_b32 s4, s2
	s_cbranch_execz .LBB31_16
; %bb.1:
	s_load_b64 s[4:5], s[0:1], 0x30
	s_wait_kmcnt 0x0
	s_cmp_lt_i32 s4, 0x7a
	s_cbranch_scc1 .LBB31_4
; %bb.2:
	s_cmp_gt_i32 s4, 0x7a
	s_cbranch_scc0 .LBB31_5
; %bb.3:
	s_cmp_lg_u32 s4, 0x7b
	s_mov_b32 s6, -1
	s_cselect_b32 s7, -1, 0
	s_cbranch_execz .LBB31_6
	s_branch .LBB31_7
.LBB31_4:
	s_mov_b32 s7, 0
	s_mov_b32 s6, 0
	s_cbranch_execnz .LBB31_8
	s_branch .LBB31_10
.LBB31_5:
	s_mov_b32 s6, 0
	s_mov_b32 s7, 0
.LBB31_6:
	v_cmp_gt_u32_e32 vcc_lo, v0, v1
	v_cmp_le_u32_e64 s2, v0, v1
	s_and_not1_b32 s6, s6, exec_lo
	s_and_not1_b32 s7, s7, exec_lo
	s_and_b32 s8, vcc_lo, exec_lo
	s_and_b32 s2, s2, exec_lo
	s_or_b32 s6, s6, s8
	s_or_b32 s7, s7, s2
.LBB31_7:
	s_branch .LBB31_10
.LBB31_8:
	s_cmp_eq_u32 s4, 0x79
	s_mov_b32 s7, -1
	s_cbranch_scc0 .LBB31_10
; %bb.9:
	v_cmp_gt_u32_e32 vcc_lo, v1, v0
	v_cmp_le_u32_e64 s2, v1, v0
	s_and_not1_b32 s4, s6, exec_lo
	s_and_b32 s6, vcc_lo, exec_lo
	s_or_not1_b32 s7, s2, exec_lo
	s_or_b32 s6, s4, s6
.LBB31_10:
	s_and_saveexec_b32 s2, s7
; %bb.11:
	v_cmp_eq_u32_e32 vcc_lo, v0, v1
	s_cmp_eq_u32 s5, 0x83
	s_cselect_b32 s4, -1, 0
	s_and_not1_b32 s5, s6, exec_lo
	s_and_b32 s4, s4, vcc_lo
	s_delay_alu instid0(SALU_CYCLE_1) | instskip(NEXT) | instid1(SALU_CYCLE_1)
	s_and_b32 s4, s4, exec_lo
	s_or_b32 s6, s5, s4
; %bb.12:
	s_or_b32 exec_lo, exec_lo, s2
	s_delay_alu instid0(SALU_CYCLE_1)
	s_and_b32 exec_lo, exec_lo, s6
	s_cbranch_execz .LBB31_16
; %bb.13:
	s_load_b256 s[4:11], s[0:1], 0x10
	s_wait_xcnt 0x0
	s_bfe_u32 s0, ttmp6, 0x40014
	s_lshr_b32 s2, ttmp7, 16
	s_add_co_i32 s0, s0, 1
	s_ashr_i32 s17, s13, 31
	s_mov_b32 s16, s13
	s_bfe_u32 s13, ttmp6, 0x40008
	s_mul_i32 s0, s2, s0
	s_ashr_i32 s15, s14, 31
	s_add_co_i32 s13, s13, s0
	v_mad_u32 v2, v1, s16, v0
	s_mov_b32 s1, 0
	s_wait_kmcnt 0x0
	s_ashr_i32 s19, s6, 31
	s_cmp_eq_u32 s3, 0
	v_mad_u32 v0, v1, s7, v0
	s_cselect_b32 s0, s2, s13
	s_mov_b32 s18, s6
	s_mul_u64 s[6:7], s[8:9], s[0:1]
	s_mul_u64 s[8:9], s[16:17], s[0:1]
	s_lshl_b64 s[6:7], s[6:7], 3
	s_mul_u64 s[8:9], s[8:9], s[14:15]
	s_lshl_b64 s[2:3], s[18:19], 3
	s_add_nc_u64 s[4:5], s[4:5], s[6:7]
	s_lshl_b64 s[6:7], s[8:9], 2
	s_cmp_lg_u32 s12, 0
	s_add_nc_u64 s[4:5], s[4:5], s[2:3]
	s_add_nc_u64 s[2:3], s[10:11], s[6:7]
	s_cbranch_scc0 .LBB31_17
; %bb.14:
	global_load_b32 v3, v2, s[2:3] scale_offset
	v_mov_b32_e32 v1, 0
	s_delay_alu instid0(VALU_DEP_1)
	v_lshl_add_u64 v[4:5], v[0:1], 3, s[4:5]
	s_wait_loadcnt 0x0
	global_store_b32 v[4:5], v3, off
	s_and_not1_b32 vcc_lo, exec_lo, s1
	s_cbranch_vccnz .LBB31_16
.LBB31_15:
	v_mov_b32_e32 v1, 0
	s_delay_alu instid0(VALU_DEP_1)
	v_lshl_add_u64 v[0:1], v[0:1], 3, s[4:5]
	global_load_b32 v0, v[0:1], off
	s_wait_loadcnt 0x0
	global_store_b32 v2, v0, s[2:3] scale_offset
.LBB31_16:
	s_endpgm
.LBB31_17:
	s_branch .LBB31_15
	.section	.rodata,"a",@progbits
	.p2align	6, 0x0
	.amdhsa_kernel _ZN9rocsolver6v33100L8copy_matI19rocblas_complex_numIfEfLb1EPS3_TnNSt9enable_ifIX18rocblas_is_complexIT_EEiE4typeELi0EEEvNS0_17copymat_directionEiiT2_iilPT0_13rocblas_fill_17rocblas_diagonal_
		.amdhsa_group_segment_fixed_size 0
		.amdhsa_private_segment_fixed_size 0
		.amdhsa_kernarg_size 312
		.amdhsa_user_sgpr_count 2
		.amdhsa_user_sgpr_dispatch_ptr 0
		.amdhsa_user_sgpr_queue_ptr 0
		.amdhsa_user_sgpr_kernarg_segment_ptr 1
		.amdhsa_user_sgpr_dispatch_id 0
		.amdhsa_user_sgpr_kernarg_preload_length 0
		.amdhsa_user_sgpr_kernarg_preload_offset 0
		.amdhsa_user_sgpr_private_segment_size 0
		.amdhsa_wavefront_size32 1
		.amdhsa_uses_dynamic_stack 0
		.amdhsa_enable_private_segment 0
		.amdhsa_system_sgpr_workgroup_id_x 1
		.amdhsa_system_sgpr_workgroup_id_y 1
		.amdhsa_system_sgpr_workgroup_id_z 1
		.amdhsa_system_sgpr_workgroup_info 0
		.amdhsa_system_vgpr_workitem_id 1
		.amdhsa_next_free_vgpr 6
		.amdhsa_next_free_sgpr 20
		.amdhsa_named_barrier_count 0
		.amdhsa_reserve_vcc 1
		.amdhsa_float_round_mode_32 0
		.amdhsa_float_round_mode_16_64 0
		.amdhsa_float_denorm_mode_32 3
		.amdhsa_float_denorm_mode_16_64 3
		.amdhsa_fp16_overflow 0
		.amdhsa_memory_ordered 1
		.amdhsa_forward_progress 1
		.amdhsa_inst_pref_size 6
		.amdhsa_round_robin_scheduling 0
		.amdhsa_exception_fp_ieee_invalid_op 0
		.amdhsa_exception_fp_denorm_src 0
		.amdhsa_exception_fp_ieee_div_zero 0
		.amdhsa_exception_fp_ieee_overflow 0
		.amdhsa_exception_fp_ieee_underflow 0
		.amdhsa_exception_fp_ieee_inexact 0
		.amdhsa_exception_int_div_zero 0
	.end_amdhsa_kernel
	.section	.text._ZN9rocsolver6v33100L8copy_matI19rocblas_complex_numIfEfLb1EPS3_TnNSt9enable_ifIX18rocblas_is_complexIT_EEiE4typeELi0EEEvNS0_17copymat_directionEiiT2_iilPT0_13rocblas_fill_17rocblas_diagonal_,"axG",@progbits,_ZN9rocsolver6v33100L8copy_matI19rocblas_complex_numIfEfLb1EPS3_TnNSt9enable_ifIX18rocblas_is_complexIT_EEiE4typeELi0EEEvNS0_17copymat_directionEiiT2_iilPT0_13rocblas_fill_17rocblas_diagonal_,comdat
.Lfunc_end31:
	.size	_ZN9rocsolver6v33100L8copy_matI19rocblas_complex_numIfEfLb1EPS3_TnNSt9enable_ifIX18rocblas_is_complexIT_EEiE4typeELi0EEEvNS0_17copymat_directionEiiT2_iilPT0_13rocblas_fill_17rocblas_diagonal_, .Lfunc_end31-_ZN9rocsolver6v33100L8copy_matI19rocblas_complex_numIfEfLb1EPS3_TnNSt9enable_ifIX18rocblas_is_complexIT_EEiE4typeELi0EEEvNS0_17copymat_directionEiiT2_iilPT0_13rocblas_fill_17rocblas_diagonal_
                                        ; -- End function
	.set _ZN9rocsolver6v33100L8copy_matI19rocblas_complex_numIfEfLb1EPS3_TnNSt9enable_ifIX18rocblas_is_complexIT_EEiE4typeELi0EEEvNS0_17copymat_directionEiiT2_iilPT0_13rocblas_fill_17rocblas_diagonal_.num_vgpr, 6
	.set _ZN9rocsolver6v33100L8copy_matI19rocblas_complex_numIfEfLb1EPS3_TnNSt9enable_ifIX18rocblas_is_complexIT_EEiE4typeELi0EEEvNS0_17copymat_directionEiiT2_iilPT0_13rocblas_fill_17rocblas_diagonal_.num_agpr, 0
	.set _ZN9rocsolver6v33100L8copy_matI19rocblas_complex_numIfEfLb1EPS3_TnNSt9enable_ifIX18rocblas_is_complexIT_EEiE4typeELi0EEEvNS0_17copymat_directionEiiT2_iilPT0_13rocblas_fill_17rocblas_diagonal_.numbered_sgpr, 20
	.set _ZN9rocsolver6v33100L8copy_matI19rocblas_complex_numIfEfLb1EPS3_TnNSt9enable_ifIX18rocblas_is_complexIT_EEiE4typeELi0EEEvNS0_17copymat_directionEiiT2_iilPT0_13rocblas_fill_17rocblas_diagonal_.num_named_barrier, 0
	.set _ZN9rocsolver6v33100L8copy_matI19rocblas_complex_numIfEfLb1EPS3_TnNSt9enable_ifIX18rocblas_is_complexIT_EEiE4typeELi0EEEvNS0_17copymat_directionEiiT2_iilPT0_13rocblas_fill_17rocblas_diagonal_.private_seg_size, 0
	.set _ZN9rocsolver6v33100L8copy_matI19rocblas_complex_numIfEfLb1EPS3_TnNSt9enable_ifIX18rocblas_is_complexIT_EEiE4typeELi0EEEvNS0_17copymat_directionEiiT2_iilPT0_13rocblas_fill_17rocblas_diagonal_.uses_vcc, 1
	.set _ZN9rocsolver6v33100L8copy_matI19rocblas_complex_numIfEfLb1EPS3_TnNSt9enable_ifIX18rocblas_is_complexIT_EEiE4typeELi0EEEvNS0_17copymat_directionEiiT2_iilPT0_13rocblas_fill_17rocblas_diagonal_.uses_flat_scratch, 0
	.set _ZN9rocsolver6v33100L8copy_matI19rocblas_complex_numIfEfLb1EPS3_TnNSt9enable_ifIX18rocblas_is_complexIT_EEiE4typeELi0EEEvNS0_17copymat_directionEiiT2_iilPT0_13rocblas_fill_17rocblas_diagonal_.has_dyn_sized_stack, 0
	.set _ZN9rocsolver6v33100L8copy_matI19rocblas_complex_numIfEfLb1EPS3_TnNSt9enable_ifIX18rocblas_is_complexIT_EEiE4typeELi0EEEvNS0_17copymat_directionEiiT2_iilPT0_13rocblas_fill_17rocblas_diagonal_.has_recursion, 0
	.set _ZN9rocsolver6v33100L8copy_matI19rocblas_complex_numIfEfLb1EPS3_TnNSt9enable_ifIX18rocblas_is_complexIT_EEiE4typeELi0EEEvNS0_17copymat_directionEiiT2_iilPT0_13rocblas_fill_17rocblas_diagonal_.has_indirect_call, 0
	.section	.AMDGPU.csdata,"",@progbits
; Kernel info:
; codeLenInByte = 644
; TotalNumSgprs: 22
; NumVgprs: 6
; ScratchSize: 0
; MemoryBound: 0
; FloatMode: 240
; IeeeMode: 1
; LDSByteSize: 0 bytes/workgroup (compile time only)
; SGPRBlocks: 0
; VGPRBlocks: 0
; NumSGPRsForWavesPerEU: 22
; NumVGPRsForWavesPerEU: 6
; NamedBarCnt: 0
; Occupancy: 16
; WaveLimiterHint : 0
; COMPUTE_PGM_RSRC2:SCRATCH_EN: 0
; COMPUTE_PGM_RSRC2:USER_SGPR: 2
; COMPUTE_PGM_RSRC2:TRAP_HANDLER: 0
; COMPUTE_PGM_RSRC2:TGID_X_EN: 1
; COMPUTE_PGM_RSRC2:TGID_Y_EN: 1
; COMPUTE_PGM_RSRC2:TGID_Z_EN: 1
; COMPUTE_PGM_RSRC2:TIDIG_COMP_CNT: 1
	.section	.text._ZN9rocsolver6v33100L8copy_matI19rocblas_complex_numIfEfLb0EPS3_TnNSt9enable_ifIX18rocblas_is_complexIT_EEiE4typeELi0EEEvNS0_17copymat_directionEiiT2_iilPT0_13rocblas_fill_17rocblas_diagonal_,"axG",@progbits,_ZN9rocsolver6v33100L8copy_matI19rocblas_complex_numIfEfLb0EPS3_TnNSt9enable_ifIX18rocblas_is_complexIT_EEiE4typeELi0EEEvNS0_17copymat_directionEiiT2_iilPT0_13rocblas_fill_17rocblas_diagonal_,comdat
	.globl	_ZN9rocsolver6v33100L8copy_matI19rocblas_complex_numIfEfLb0EPS3_TnNSt9enable_ifIX18rocblas_is_complexIT_EEiE4typeELi0EEEvNS0_17copymat_directionEiiT2_iilPT0_13rocblas_fill_17rocblas_diagonal_ ; -- Begin function _ZN9rocsolver6v33100L8copy_matI19rocblas_complex_numIfEfLb0EPS3_TnNSt9enable_ifIX18rocblas_is_complexIT_EEiE4typeELi0EEEvNS0_17copymat_directionEiiT2_iilPT0_13rocblas_fill_17rocblas_diagonal_
	.p2align	8
	.type	_ZN9rocsolver6v33100L8copy_matI19rocblas_complex_numIfEfLb0EPS3_TnNSt9enable_ifIX18rocblas_is_complexIT_EEiE4typeELi0EEEvNS0_17copymat_directionEiiT2_iilPT0_13rocblas_fill_17rocblas_diagonal_,@function
_ZN9rocsolver6v33100L8copy_matI19rocblas_complex_numIfEfLb0EPS3_TnNSt9enable_ifIX18rocblas_is_complexIT_EEiE4typeELi0EEEvNS0_17copymat_directionEiiT2_iilPT0_13rocblas_fill_17rocblas_diagonal_: ; @_ZN9rocsolver6v33100L8copy_matI19rocblas_complex_numIfEfLb0EPS3_TnNSt9enable_ifIX18rocblas_is_complexIT_EEiE4typeELi0EEEvNS0_17copymat_directionEiiT2_iilPT0_13rocblas_fill_17rocblas_diagonal_
; %bb.0:
	s_clause 0x1
	s_load_b32 s2, s[0:1], 0x44
	s_load_b96 s[12:14], s[0:1], 0x0
	s_bfe_u32 s5, ttmp6, 0x4000c
	s_bfe_u32 s7, ttmp6, 0x40010
	s_and_b32 s6, ttmp7, 0xffff
	s_add_co_i32 s5, s5, 1
	s_add_co_i32 s7, s7, 1
	s_and_b32 s4, ttmp6, 15
	s_bfe_u32 s8, ttmp6, 0x40004
	s_mul_i32 s5, ttmp9, s5
	s_mul_i32 s7, s6, s7
	s_getreg_b32 s3, hwreg(HW_REG_IB_STS2, 6, 4)
	v_bfe_u32 v1, v0, 10, 10
	v_and_b32_e32 v0, 0x3ff, v0
	s_add_co_i32 s4, s4, s5
	s_add_co_i32 s8, s8, s7
	s_wait_kmcnt 0x0
	s_lshr_b32 s5, s2, 16
	s_and_b32 s2, s2, 0xffff
	s_cmp_eq_u32 s3, 0
	s_cselect_b32 s4, ttmp9, s4
	s_cselect_b32 s6, s6, s8
	v_mad_u32 v0, s4, s2, v0
	v_mad_u32 v1, s6, s5, v1
	s_delay_alu instid0(VALU_DEP_2) | instskip(NEXT) | instid1(VALU_DEP_2)
	v_cmp_gt_u32_e32 vcc_lo, s13, v0
	v_cmp_gt_u32_e64 s2, s14, v1
	s_and_b32 s2, s2, vcc_lo
	s_delay_alu instid0(SALU_CYCLE_1)
	s_and_saveexec_b32 s4, s2
	s_cbranch_execz .LBB32_16
; %bb.1:
	s_load_b64 s[4:5], s[0:1], 0x30
	s_wait_kmcnt 0x0
	s_cmp_lt_i32 s4, 0x7a
	s_cbranch_scc1 .LBB32_4
; %bb.2:
	s_cmp_gt_i32 s4, 0x7a
	s_cbranch_scc0 .LBB32_5
; %bb.3:
	s_cmp_lg_u32 s4, 0x7b
	s_mov_b32 s6, -1
	s_cselect_b32 s7, -1, 0
	s_cbranch_execz .LBB32_6
	s_branch .LBB32_7
.LBB32_4:
	s_mov_b32 s7, 0
	s_mov_b32 s6, 0
	s_cbranch_execnz .LBB32_8
	s_branch .LBB32_10
.LBB32_5:
	s_mov_b32 s6, 0
	s_mov_b32 s7, 0
.LBB32_6:
	v_cmp_gt_u32_e32 vcc_lo, v0, v1
	v_cmp_le_u32_e64 s2, v0, v1
	s_and_not1_b32 s6, s6, exec_lo
	s_and_not1_b32 s7, s7, exec_lo
	s_and_b32 s8, vcc_lo, exec_lo
	s_and_b32 s2, s2, exec_lo
	s_or_b32 s6, s6, s8
	s_or_b32 s7, s7, s2
.LBB32_7:
	s_branch .LBB32_10
.LBB32_8:
	s_cmp_eq_u32 s4, 0x79
	s_mov_b32 s7, -1
	s_cbranch_scc0 .LBB32_10
; %bb.9:
	v_cmp_gt_u32_e32 vcc_lo, v1, v0
	v_cmp_le_u32_e64 s2, v1, v0
	s_and_not1_b32 s4, s6, exec_lo
	s_and_b32 s6, vcc_lo, exec_lo
	s_or_not1_b32 s7, s2, exec_lo
	s_or_b32 s6, s4, s6
.LBB32_10:
	s_and_saveexec_b32 s2, s7
; %bb.11:
	v_cmp_eq_u32_e32 vcc_lo, v0, v1
	s_cmp_eq_u32 s5, 0x83
	s_cselect_b32 s4, -1, 0
	s_and_not1_b32 s5, s6, exec_lo
	s_and_b32 s4, s4, vcc_lo
	s_delay_alu instid0(SALU_CYCLE_1) | instskip(NEXT) | instid1(SALU_CYCLE_1)
	s_and_b32 s4, s4, exec_lo
	s_or_b32 s6, s5, s4
; %bb.12:
	s_or_b32 exec_lo, exec_lo, s2
	s_delay_alu instid0(SALU_CYCLE_1)
	s_and_b32 exec_lo, exec_lo, s6
	s_cbranch_execz .LBB32_16
; %bb.13:
	s_load_b256 s[4:11], s[0:1], 0x10
	s_wait_xcnt 0x0
	s_bfe_u32 s0, ttmp6, 0x40014
	s_lshr_b32 s2, ttmp7, 16
	s_add_co_i32 s0, s0, 1
	s_ashr_i32 s17, s13, 31
	s_mov_b32 s16, s13
	s_bfe_u32 s13, ttmp6, 0x40008
	s_mul_i32 s0, s2, s0
	s_ashr_i32 s15, s14, 31
	s_add_co_i32 s13, s13, s0
	s_mov_b32 s1, 0
	v_mad_u32 v2, v1, s16, v0
	v_mov_b32_e32 v5, 0
	s_wait_kmcnt 0x0
	s_ashr_i32 s19, s6, 31
	s_cmp_eq_u32 s3, 0
	v_mad_u32 v4, v1, s7, v0
	s_cselect_b32 s0, s2, s13
	s_mov_b32 s18, s6
	s_mul_u64 s[2:3], s[8:9], s[0:1]
	s_mul_u64 s[6:7], s[16:17], s[0:1]
	s_lshl_b64 s[2:3], s[2:3], 3
	s_delay_alu instid0(SALU_CYCLE_1) | instskip(SKIP_1) | instid1(SALU_CYCLE_1)
	s_add_nc_u64 s[2:3], s[4:5], s[2:3]
	s_lshl_b64 s[4:5], s[18:19], 3
	s_add_nc_u64 s[2:3], s[2:3], s[4:5]
	s_mul_u64 s[4:5], s[6:7], s[14:15]
	s_delay_alu instid0(VALU_DEP_1)
	v_lshl_add_u64 v[0:1], v[4:5], 3, s[2:3]
	s_lshl_b64 s[2:3], s[4:5], 2
	s_cmp_lg_u32 s12, 0
	s_add_nc_u64 s[2:3], s[10:11], s[2:3]
	s_cbranch_scc0 .LBB32_17
; %bb.14:
	global_load_b32 v3, v2, s[2:3] scale_offset
	s_wait_loadcnt 0x0
	global_store_b32 v[0:1], v3, off offset:4
	s_and_not1_b32 vcc_lo, exec_lo, s1
	s_cbranch_vccnz .LBB32_16
.LBB32_15:
	global_load_b32 v0, v[0:1], off offset:4
	s_wait_loadcnt 0x0
	global_store_b32 v2, v0, s[2:3] scale_offset
.LBB32_16:
	s_endpgm
.LBB32_17:
	s_branch .LBB32_15
	.section	.rodata,"a",@progbits
	.p2align	6, 0x0
	.amdhsa_kernel _ZN9rocsolver6v33100L8copy_matI19rocblas_complex_numIfEfLb0EPS3_TnNSt9enable_ifIX18rocblas_is_complexIT_EEiE4typeELi0EEEvNS0_17copymat_directionEiiT2_iilPT0_13rocblas_fill_17rocblas_diagonal_
		.amdhsa_group_segment_fixed_size 0
		.amdhsa_private_segment_fixed_size 0
		.amdhsa_kernarg_size 312
		.amdhsa_user_sgpr_count 2
		.amdhsa_user_sgpr_dispatch_ptr 0
		.amdhsa_user_sgpr_queue_ptr 0
		.amdhsa_user_sgpr_kernarg_segment_ptr 1
		.amdhsa_user_sgpr_dispatch_id 0
		.amdhsa_user_sgpr_kernarg_preload_length 0
		.amdhsa_user_sgpr_kernarg_preload_offset 0
		.amdhsa_user_sgpr_private_segment_size 0
		.amdhsa_wavefront_size32 1
		.amdhsa_uses_dynamic_stack 0
		.amdhsa_enable_private_segment 0
		.amdhsa_system_sgpr_workgroup_id_x 1
		.amdhsa_system_sgpr_workgroup_id_y 1
		.amdhsa_system_sgpr_workgroup_id_z 1
		.amdhsa_system_sgpr_workgroup_info 0
		.amdhsa_system_vgpr_workitem_id 1
		.amdhsa_next_free_vgpr 6
		.amdhsa_next_free_sgpr 20
		.amdhsa_named_barrier_count 0
		.amdhsa_reserve_vcc 1
		.amdhsa_float_round_mode_32 0
		.amdhsa_float_round_mode_16_64 0
		.amdhsa_float_denorm_mode_32 3
		.amdhsa_float_denorm_mode_16_64 3
		.amdhsa_fp16_overflow 0
		.amdhsa_memory_ordered 1
		.amdhsa_forward_progress 1
		.amdhsa_inst_pref_size 5
		.amdhsa_round_robin_scheduling 0
		.amdhsa_exception_fp_ieee_invalid_op 0
		.amdhsa_exception_fp_denorm_src 0
		.amdhsa_exception_fp_ieee_div_zero 0
		.amdhsa_exception_fp_ieee_overflow 0
		.amdhsa_exception_fp_ieee_underflow 0
		.amdhsa_exception_fp_ieee_inexact 0
		.amdhsa_exception_int_div_zero 0
	.end_amdhsa_kernel
	.section	.text._ZN9rocsolver6v33100L8copy_matI19rocblas_complex_numIfEfLb0EPS3_TnNSt9enable_ifIX18rocblas_is_complexIT_EEiE4typeELi0EEEvNS0_17copymat_directionEiiT2_iilPT0_13rocblas_fill_17rocblas_diagonal_,"axG",@progbits,_ZN9rocsolver6v33100L8copy_matI19rocblas_complex_numIfEfLb0EPS3_TnNSt9enable_ifIX18rocblas_is_complexIT_EEiE4typeELi0EEEvNS0_17copymat_directionEiiT2_iilPT0_13rocblas_fill_17rocblas_diagonal_,comdat
.Lfunc_end32:
	.size	_ZN9rocsolver6v33100L8copy_matI19rocblas_complex_numIfEfLb0EPS3_TnNSt9enable_ifIX18rocblas_is_complexIT_EEiE4typeELi0EEEvNS0_17copymat_directionEiiT2_iilPT0_13rocblas_fill_17rocblas_diagonal_, .Lfunc_end32-_ZN9rocsolver6v33100L8copy_matI19rocblas_complex_numIfEfLb0EPS3_TnNSt9enable_ifIX18rocblas_is_complexIT_EEiE4typeELi0EEEvNS0_17copymat_directionEiiT2_iilPT0_13rocblas_fill_17rocblas_diagonal_
                                        ; -- End function
	.set _ZN9rocsolver6v33100L8copy_matI19rocblas_complex_numIfEfLb0EPS3_TnNSt9enable_ifIX18rocblas_is_complexIT_EEiE4typeELi0EEEvNS0_17copymat_directionEiiT2_iilPT0_13rocblas_fill_17rocblas_diagonal_.num_vgpr, 6
	.set _ZN9rocsolver6v33100L8copy_matI19rocblas_complex_numIfEfLb0EPS3_TnNSt9enable_ifIX18rocblas_is_complexIT_EEiE4typeELi0EEEvNS0_17copymat_directionEiiT2_iilPT0_13rocblas_fill_17rocblas_diagonal_.num_agpr, 0
	.set _ZN9rocsolver6v33100L8copy_matI19rocblas_complex_numIfEfLb0EPS3_TnNSt9enable_ifIX18rocblas_is_complexIT_EEiE4typeELi0EEEvNS0_17copymat_directionEiiT2_iilPT0_13rocblas_fill_17rocblas_diagonal_.numbered_sgpr, 20
	.set _ZN9rocsolver6v33100L8copy_matI19rocblas_complex_numIfEfLb0EPS3_TnNSt9enable_ifIX18rocblas_is_complexIT_EEiE4typeELi0EEEvNS0_17copymat_directionEiiT2_iilPT0_13rocblas_fill_17rocblas_diagonal_.num_named_barrier, 0
	.set _ZN9rocsolver6v33100L8copy_matI19rocblas_complex_numIfEfLb0EPS3_TnNSt9enable_ifIX18rocblas_is_complexIT_EEiE4typeELi0EEEvNS0_17copymat_directionEiiT2_iilPT0_13rocblas_fill_17rocblas_diagonal_.private_seg_size, 0
	.set _ZN9rocsolver6v33100L8copy_matI19rocblas_complex_numIfEfLb0EPS3_TnNSt9enable_ifIX18rocblas_is_complexIT_EEiE4typeELi0EEEvNS0_17copymat_directionEiiT2_iilPT0_13rocblas_fill_17rocblas_diagonal_.uses_vcc, 1
	.set _ZN9rocsolver6v33100L8copy_matI19rocblas_complex_numIfEfLb0EPS3_TnNSt9enable_ifIX18rocblas_is_complexIT_EEiE4typeELi0EEEvNS0_17copymat_directionEiiT2_iilPT0_13rocblas_fill_17rocblas_diagonal_.uses_flat_scratch, 0
	.set _ZN9rocsolver6v33100L8copy_matI19rocblas_complex_numIfEfLb0EPS3_TnNSt9enable_ifIX18rocblas_is_complexIT_EEiE4typeELi0EEEvNS0_17copymat_directionEiiT2_iilPT0_13rocblas_fill_17rocblas_diagonal_.has_dyn_sized_stack, 0
	.set _ZN9rocsolver6v33100L8copy_matI19rocblas_complex_numIfEfLb0EPS3_TnNSt9enable_ifIX18rocblas_is_complexIT_EEiE4typeELi0EEEvNS0_17copymat_directionEiiT2_iilPT0_13rocblas_fill_17rocblas_diagonal_.has_recursion, 0
	.set _ZN9rocsolver6v33100L8copy_matI19rocblas_complex_numIfEfLb0EPS3_TnNSt9enable_ifIX18rocblas_is_complexIT_EEiE4typeELi0EEEvNS0_17copymat_directionEiiT2_iilPT0_13rocblas_fill_17rocblas_diagonal_.has_indirect_call, 0
	.section	.AMDGPU.csdata,"",@progbits
; Kernel info:
; codeLenInByte = 632
; TotalNumSgprs: 22
; NumVgprs: 6
; ScratchSize: 0
; MemoryBound: 0
; FloatMode: 240
; IeeeMode: 1
; LDSByteSize: 0 bytes/workgroup (compile time only)
; SGPRBlocks: 0
; VGPRBlocks: 0
; NumSGPRsForWavesPerEU: 22
; NumVGPRsForWavesPerEU: 6
; NamedBarCnt: 0
; Occupancy: 16
; WaveLimiterHint : 0
; COMPUTE_PGM_RSRC2:SCRATCH_EN: 0
; COMPUTE_PGM_RSRC2:USER_SGPR: 2
; COMPUTE_PGM_RSRC2:TRAP_HANDLER: 0
; COMPUTE_PGM_RSRC2:TGID_X_EN: 1
; COMPUTE_PGM_RSRC2:TGID_Y_EN: 1
; COMPUTE_PGM_RSRC2:TGID_Z_EN: 1
; COMPUTE_PGM_RSRC2:TIDIG_COMP_CNT: 1
	.section	.text._ZN9rocsolver6v33100L11stedcx_sortI19rocblas_complex_numIfEfPS3_EEviPT0_lT1_iiliPiS8_,"axG",@progbits,_ZN9rocsolver6v33100L11stedcx_sortI19rocblas_complex_numIfEfPS3_EEviPT0_lT1_iiliPiS8_,comdat
	.globl	_ZN9rocsolver6v33100L11stedcx_sortI19rocblas_complex_numIfEfPS3_EEviPT0_lT1_iiliPiS8_ ; -- Begin function _ZN9rocsolver6v33100L11stedcx_sortI19rocblas_complex_numIfEfPS3_EEviPT0_lT1_iiliPiS8_
	.p2align	8
	.type	_ZN9rocsolver6v33100L11stedcx_sortI19rocblas_complex_numIfEfPS3_EEviPT0_lT1_iiliPiS8_,@function
_ZN9rocsolver6v33100L11stedcx_sortI19rocblas_complex_numIfEfPS3_EEviPT0_lT1_iiliPiS8_: ; @_ZN9rocsolver6v33100L11stedcx_sortI19rocblas_complex_numIfEfPS3_EEviPT0_lT1_iiliPiS8_
; %bb.0:
	s_load_b32 s33, s[0:1], 0x30
	s_bfe_u32 s2, ttmp6, 0x40014
	s_lshr_b32 s3, ttmp7, 16
	s_add_co_i32 s2, s2, 1
	s_bfe_u32 s4, ttmp6, 0x40008
	s_mul_i32 s2, s3, s2
	s_getreg_b32 s5, hwreg(HW_REG_IB_STS2, 6, 4)
	s_add_co_i32 s4, s4, s2
	s_cmp_eq_u32 s5, 0
	s_mov_b32 s19, 0
	s_cselect_b32 s16, s3, s4
	s_mov_b32 s32, 0
	s_wait_kmcnt 0x0
	s_cmp_ge_i32 s16, s33
	s_cbranch_scc1 .LBB33_70
; %bb.1:
	s_clause 0x3
	s_load_b32 s20, s[0:1], 0x0
	s_load_b256 s[4:11], s[0:1], 0x8
	s_load_b64 s[24:25], s[0:1], 0x28
	s_load_b128 s[12:15], s[0:1], 0x38
	s_mov_b32 s17, s19
	s_add_nc_u64 s[22:23], s[0:1], 0x48
	s_load_b32 s36, s[0:1], 0x50
	v_and_b32_e32 v6, 0x3ff, v0
	v_bfe_u32 v7, v0, 10, 10
	v_bfe_u32 v8, v0, 20, 10
	v_mov_b32_e32 v1, 0
	s_mov_b32 s27, s19
	s_mov_b32 s42, 0
	s_get_pc_i64 s[28:29]
	s_add_nc_u64 s[28:29], s[28:29], __const._ZN9rocsolver6v33100L20shell_sort_ascendingIfiEEvT0_PT_PS2_.gaps@rel64+4
	v_or3_b32 v0, v7, v8, v6
                                        ; implicit-def: $sgpr43
                                        ; implicit-def: $sgpr40
                                        ; implicit-def: $sgpr44
                                        ; implicit-def: $sgpr45
	s_wait_kmcnt 0x0
	s_ashr_i32 s21, s20, 31
	s_mov_b32 s30, s10
	s_mul_u64 s[0:1], s[20:21], s[16:17]
	s_mov_b32 s26, s11
	s_lshl_b64 s[2:3], s[0:1], 2
	s_cmp_lg_u64 s[8:9], 0
	v_cmp_eq_u32_e64 s0, 0, v0
	s_cselect_b32 s21, -1, 0
	s_ashr_i32 s31, s10, 31
	s_delay_alu instid0(SALU_CYCLE_1)
	s_lshl_b64 s[34:35], s[30:31], 3
	s_cmp_lg_u64 s[14:15], 0
	s_add_nc_u64 s[30:31], s[12:13], s[2:3]
	s_cselect_b32 s37, -1, 0
	s_cmp_eq_u64 s[4:5], 0
	s_add_nc_u64 s[8:9], s[8:9], s[34:35]
	s_cselect_b32 s38, -1, 0
	s_cmp_lg_u64 s[12:13], 0
	s_cselect_b32 s39, -1, 0
	s_min_i32 s1, s20, s11
	s_delay_alu instid0(SALU_CYCLE_1) | instskip(SKIP_1) | instid1(SALU_CYCLE_1)
	s_cmp_gt_i32 s1, 0
	s_cselect_b32 s1, -1, 0
	s_and_b32 s41, s1, s39
	s_branch .LBB33_4
.LBB33_2:                               ;   in Loop: Header=BB33_4 Depth=1
	s_or_b32 exec_lo, exec_lo, s2
	s_delay_alu instid0(SALU_CYCLE_1)
	s_and_not1_b32 s1, s45, exec_lo
	s_and_b32 s2, s10, exec_lo
	s_and_not1_b32 s44, s44, exec_lo
	s_or_b32 s45, s1, s2
	s_or_not1_b32 s47, s17, exec_lo
.LBB33_3:                               ;   in Loop: Header=BB33_4 Depth=1
	s_or_b32 exec_lo, exec_lo, s3
	s_delay_alu instid0(SALU_CYCLE_1) | instskip(NEXT) | instid1(SALU_CYCLE_1)
	s_and_b32 s1, exec_lo, s47
	s_or_b32 s42, s1, s42
	s_and_not1_b32 s1, s40, exec_lo
	s_and_b32 s2, s45, exec_lo
	s_and_not1_b32 s3, s43, exec_lo
	s_and_b32 s10, s44, exec_lo
	s_or_b32 s40, s1, s2
	s_or_b32 s43, s3, s10
	s_and_not1_b32 exec_lo, exec_lo, s42
	s_cbranch_execz .LBB33_66
.LBB33_4:                               ; =>This Loop Header: Depth=1
                                        ;     Child Loop BB33_11 Depth 2
                                        ;     Child Loop BB33_15 Depth 2
                                        ;       Child Loop BB33_18 Depth 3
                                        ;         Child Loop BB33_22 Depth 4
                                        ;     Child Loop BB33_33 Depth 2
                                        ;     Child Loop BB33_47 Depth 2
                                        ;       Child Loop BB33_50 Depth 3
                                        ;         Child Loop BB33_54 Depth 4
                                        ;     Child Loop BB33_58 Depth 2
	s_ashr_i32 s17, s16, 31
	s_and_not1_b32 vcc_lo, exec_lo, s21
	s_mov_b64 s[10:11], 0
	s_cbranch_vccnz .LBB33_6
; %bb.5:                                ;   in Loop: Header=BB33_4 Depth=1
	s_mul_u64 s[2:3], s[24:25], s[16:17]
	s_delay_alu instid0(SALU_CYCLE_1) | instskip(NEXT) | instid1(SALU_CYCLE_1)
	s_lshl_b64 s[2:3], s[2:3], 3
	s_add_nc_u64 s[10:11], s[8:9], s[2:3]
.LBB33_6:                               ;   in Loop: Header=BB33_4 Depth=1
	s_and_not1_b32 vcc_lo, exec_lo, s37
	s_mov_b32 s46, s20
	s_cbranch_vccnz .LBB33_8
; %bb.7:                                ;   in Loop: Header=BB33_4 Depth=1
	s_lshl_b64 s[2:3], s[16:17], 2
	s_delay_alu instid0(SALU_CYCLE_1)
	s_add_nc_u64 s[2:3], s[14:15], s[2:3]
	global_load_b32 v0, v1, s[2:3]
	s_wait_loadcnt 0x0
	v_readfirstlane_b32 s46, v0
.LBB33_8:                               ;   in Loop: Header=BB33_4 Depth=1
	s_delay_alu instid0(VALU_DEP_1) | instskip(SKIP_2) | instid1(SALU_CYCLE_1)
	s_cmp_lt_i32 s46, 1
	s_mov_b32 s47, -1
	s_cselect_b32 s1, -1, 0
	s_or_b32 s1, s38, s1
	s_barrier_signal -1
	s_and_b32 vcc_lo, exec_lo, s1
	s_mov_b32 s1, -1
	s_barrier_wait -1
	s_cbranch_vccnz .LBB33_42
; %bb.9:                                ;   in Loop: Header=BB33_4 Depth=1
	s_load_b64 s[2:3], s[22:23], 0xc
	s_barrier_signal -1
	s_barrier_wait -1
	s_wait_kmcnt 0x0
	s_and_b32 s1, s2, 0xffff
	s_lshr_b32 s2, s2, 16
	v_mad_u32_u24 v0, v7, s1, v6
	s_mul_i32 s48, s2, s1
	s_and_b32 s1, s3, 0xffff
	s_delay_alu instid0(VALU_DEP_1) | instskip(SKIP_1) | instid1(VALU_DEP_1)
	v_mad_u32 v0, s48, v8, v0
	s_mul_i32 s48, s48, s1
	v_cmp_gt_u32_e32 vcc_lo, s46, v0
	s_and_b32 s2, s39, vcc_lo
	s_delay_alu instid0(SALU_CYCLE_1)
	s_and_saveexec_b32 s1, s2
	s_cbranch_execz .LBB33_12
; %bb.10:                               ;   in Loop: Header=BB33_4 Depth=1
	v_mov_b32_e32 v2, v0
	s_mov_b32 s2, 0
.LBB33_11:                              ;   Parent Loop BB33_4 Depth=1
                                        ; =>  This Inner Loop Header: Depth=2
	global_store_b32 v2, v2, s[30:31] scale_offset
	s_wait_xcnt 0x0
	v_add_nc_u32_e32 v2, s48, v2
	s_delay_alu instid0(VALU_DEP_1) | instskip(SKIP_1) | instid1(SALU_CYCLE_1)
	v_cmp_le_u32_e32 vcc_lo, s46, v2
	s_or_b32 s2, vcc_lo, s2
	s_and_not1_b32 exec_lo, exec_lo, s2
	s_cbranch_execnz .LBB33_11
.LBB33_12:                              ;   in Loop: Header=BB33_4 Depth=1
	s_or_b32 exec_lo, exec_lo, s1
	s_mul_u64 s[2:3], s[6:7], s[16:17]
	s_wait_storecnt 0x0
	s_lshl_b64 s[2:3], s[2:3], 2
	s_barrier_signal -1
	s_add_nc_u64 s[2:3], s[4:5], s[2:3]
	s_barrier_wait -1
	s_and_saveexec_b32 s1, s0
	s_cbranch_execz .LBB33_29
; %bb.13:                               ;   in Loop: Header=BB33_4 Depth=1
	s_mov_b32 s17, 0
	s_branch .LBB33_15
.LBB33_14:                              ;   in Loop: Header=BB33_15 Depth=2
	s_wait_xcnt 0x0
	s_add_co_i32 s17, s17, 1
	s_delay_alu instid0(SALU_CYCLE_1)
	s_cmp_eq_u32 s17, 8
	s_cbranch_scc1 .LBB33_29
.LBB33_15:                              ;   Parent Loop BB33_4 Depth=1
                                        ; =>  This Loop Header: Depth=2
                                        ;       Child Loop BB33_18 Depth 3
                                        ;         Child Loop BB33_22 Depth 4
	s_load_b32 s49, s[28:29], s17 offset:0x0 scale_offset
	s_wait_kmcnt 0x0
	s_cmp_ge_i32 s49, s46
	s_cbranch_scc1 .LBB33_14
; %bb.16:                               ;   in Loop: Header=BB33_15 Depth=2
	s_mov_b32 s50, 0
	s_mov_b32 s12, s49
	s_branch .LBB33_18
.LBB33_17:                              ;   in Loop: Header=BB33_18 Depth=3
	s_add_co_i32 s12, s12, 1
	s_add_co_i32 s50, s50, 1
	s_cmp_ge_i32 s12, s46
	s_cbranch_scc1 .LBB33_14
.LBB33_18:                              ;   Parent Loop BB33_4 Depth=1
                                        ;     Parent Loop BB33_15 Depth=2
                                        ; =>    This Loop Header: Depth=3
                                        ;         Child Loop BB33_22 Depth 4
	s_wait_xcnt 0x0
	v_mov_b32_e32 v2, s12
	s_and_not1_b32 vcc_lo, exec_lo, s39
	s_ashr_i32 s13, s12, 31
	global_load_b32 v2, v2, s[2:3] scale_offset
	s_cbranch_vccnz .LBB33_20
; %bb.19:                               ;   in Loop: Header=BB33_18 Depth=3
	s_lshl_b64 s[34:35], s[12:13], 2
	s_delay_alu instid0(SALU_CYCLE_1)
	s_add_nc_u64 s[34:35], s[30:31], s[34:35]
	global_load_b32 v3, v1, s[34:35]
	s_cmp_lt_i32 s12, s49
	s_wait_xcnt 0x0
	s_mov_b64 s[34:35], s[12:13]
	s_mov_b32 s18, s50
	s_cbranch_scc0 .LBB33_22
	s_branch .LBB33_27
.LBB33_20:                              ;   in Loop: Header=BB33_18 Depth=3
	v_mov_b32_e32 v3, 0
	s_cmp_lt_i32 s12, s49
	s_mov_b64 s[34:35], s[12:13]
	s_mov_b32 s18, s50
	s_cbranch_scc0 .LBB33_22
	s_branch .LBB33_27
.LBB33_21:                              ;   in Loop: Header=BB33_22 Depth=4
                                        ; implicit-def: $sgpr13
	s_and_b32 vcc_lo, exec_lo, s35
	s_mov_b32 s18, s13
	s_cbranch_vccnz .LBB33_26
.LBB33_22:                              ;   Parent Loop BB33_4 Depth=1
                                        ;     Parent Loop BB33_15 Depth=2
                                        ;       Parent Loop BB33_18 Depth=3
                                        ; =>      This Inner Loop Header: Depth=4
	s_wait_xcnt 0x0
	v_mov_b32_e32 v4, s18
	s_add_co_i32 s34, s49, s18
	s_mov_b32 s35, -1
	global_load_b32 v4, v4, s[2:3] scale_offset
	s_wait_loadcnt 0x0
	v_cmp_ngt_f32_e32 vcc_lo, v4, v2
	s_cbranch_vccnz .LBB33_21
; %bb.23:                               ;   in Loop: Header=BB33_22 Depth=4
	v_mov_b32_e32 v5, s34
	s_and_not1_b32 vcc_lo, exec_lo, s39
	global_store_b32 v5, v4, s[2:3] scale_offset
	s_cbranch_vccnz .LBB33_25
; %bb.24:                               ;   in Loop: Header=BB33_22 Depth=4
	s_lshl_b64 s[52:53], s[18:19], 2
	s_ashr_i32 s35, s34, 31
	s_add_nc_u64 s[52:53], s[30:31], s[52:53]
	s_lshl_b64 s[34:35], s[34:35], 2
	global_load_b32 v4, v1, s[52:53]
	s_add_nc_u64 s[34:35], s[30:31], s[34:35]
	s_wait_loadcnt 0x0
	global_store_b32 v1, v4, s[34:35]
.LBB33_25:                              ;   in Loop: Header=BB33_22 Depth=4
	s_sub_co_i32 s13, s18, s49
	s_cmp_lt_i32 s18, s49
	s_wait_xcnt 0x0
	s_mov_b32 s34, s18
	s_cselect_b32 s35, -1, 0
	s_delay_alu instid0(SALU_CYCLE_1)
	s_and_b32 vcc_lo, exec_lo, s35
	s_mov_b32 s18, s13
	s_cbranch_vccz .LBB33_22
.LBB33_26:                              ;   in Loop: Header=BB33_18 Depth=3
	s_ashr_i32 s35, s34, 31
.LBB33_27:                              ;   in Loop: Header=BB33_18 Depth=3
	s_delay_alu instid0(SALU_CYCLE_1)
	s_lshl_b64 s[34:35], s[34:35], 2
	s_and_not1_b32 vcc_lo, exec_lo, s39
	s_add_nc_u64 s[52:53], s[2:3], s[34:35]
	s_wait_loadcnt 0x0
	global_store_b32 v1, v2, s[52:53]
	s_cbranch_vccnz .LBB33_17
; %bb.28:                               ;   in Loop: Header=BB33_18 Depth=3
	s_add_nc_u64 s[34:35], s[30:31], s[34:35]
	global_store_b32 v1, v3, s[34:35]
	s_branch .LBB33_17
.LBB33_29:                              ;   in Loop: Header=BB33_4 Depth=1
	s_wait_xcnt 0x0
	s_or_b32 exec_lo, exec_lo, s1
	s_cmp_lt_u32 s46, 2
	s_wait_storecnt 0x0
	s_cselect_b32 s17, -1, 0
	s_barrier_signal -1
	s_and_b32 vcc_lo, exec_lo, s17
	s_barrier_wait -1
	s_cbranch_vccnz .LBB33_39
; %bb.30:                               ;   in Loop: Header=BB33_4 Depth=1
	s_add_co_i32 s13, s46, -1
	s_mov_b32 s17, -1
	s_mov_b32 s12, exec_lo
	v_cmpx_gt_u32_e64 s13, v0
	s_cbranch_execz .LBB33_38
; %bb.31:                               ;   in Loop: Header=BB33_4 Depth=1
	s_mov_b32 s17, 0
                                        ; implicit-def: $sgpr18
	s_branch .LBB33_33
.LBB33_32:                              ;   in Loop: Header=BB33_33 Depth=2
	s_or_b32 exec_lo, exec_lo, s49
	s_xor_b32 s34, s35, -1
	s_and_b32 s1, exec_lo, s1
	s_delay_alu instid0(SALU_CYCLE_1) | instskip(SKIP_2) | instid1(SALU_CYCLE_1)
	s_or_b32 s17, s1, s17
	s_and_not1_b32 s1, s18, exec_lo
	s_and_b32 s18, s34, exec_lo
	s_or_b32 s18, s1, s18
	s_and_not1_b32 exec_lo, exec_lo, s17
	s_cbranch_execz .LBB33_37
.LBB33_33:                              ;   Parent Loop BB33_4 Depth=1
                                        ; =>  This Inner Loop Header: Depth=2
	global_load_b32 v2, v0, s[2:3] scale_offset
	s_mov_b32 s35, exec_lo
	s_wait_loadcnt 0x0
	v_cmp_u_f32_e64 s34, v2, v2
	v_cmpx_o_f32_e32 v2, v2
	s_cbranch_execz .LBB33_35
; %bb.34:                               ;   in Loop: Header=BB33_33 Depth=2
	v_lshl_add_u64 v[4:5], v[0:1], 2, s[2:3]
	s_and_not1_b32 s34, s34, exec_lo
	global_load_b32 v3, v[4:5], off offset:4
	s_wait_loadcnt 0x0
	v_cmp_u_f32_e32 vcc_lo, v3, v3
	v_cmp_le_f32_e64 s1, v2, v3
	s_or_b32 s1, vcc_lo, s1
	s_delay_alu instid0(SALU_CYCLE_1) | instskip(NEXT) | instid1(SALU_CYCLE_1)
	s_and_b32 s1, s1, exec_lo
	s_or_b32 s34, s34, s1
.LBB33_35:                              ;   in Loop: Header=BB33_33 Depth=2
	s_or_b32 exec_lo, exec_lo, s35
	s_mov_b32 s1, -1
	s_mov_b32 s35, -1
	s_and_saveexec_b32 s49, s34
	s_cbranch_execz .LBB33_32
; %bb.36:                               ;   in Loop: Header=BB33_33 Depth=2
	v_add_nc_u32_e32 v0, s48, v0
	s_xor_b32 s35, exec_lo, -1
	s_delay_alu instid0(VALU_DEP_1)
	v_cmp_le_u32_e32 vcc_lo, s13, v0
	s_or_not1_b32 s1, vcc_lo, exec_lo
	s_branch .LBB33_32
.LBB33_37:                              ;   in Loop: Header=BB33_4 Depth=1
	s_or_b32 exec_lo, exec_lo, s17
	s_delay_alu instid0(SALU_CYCLE_1)
	s_or_not1_b32 s17, s18, exec_lo
.LBB33_38:                              ;   in Loop: Header=BB33_4 Depth=1
	s_or_b32 exec_lo, exec_lo, s12
.LBB33_39:                              ;   in Loop: Header=BB33_4 Depth=1
	s_mov_b32 s1, 0
	s_and_saveexec_b32 s2, s17
	s_cbranch_execz .LBB33_41
; %bb.40:                               ;   in Loop: Header=BB33_4 Depth=1
	s_mov_b32 s1, exec_lo
	s_barrier_signal -1
	s_barrier_wait -1
.LBB33_41:                              ;   in Loop: Header=BB33_4 Depth=1
	s_or_b32 exec_lo, exec_lo, s2
.LBB33_42:                              ;   in Loop: Header=BB33_4 Depth=1
	s_delay_alu instid0(SALU_CYCLE_1)
	s_and_not1_b32 s45, s45, exec_lo
	s_or_b32 s44, s44, exec_lo
	s_and_saveexec_b32 s3, s1
	s_cbranch_execz .LBB33_3
; %bb.43:                               ;   in Loop: Header=BB33_4 Depth=1
	s_cmp_lg_u64 s[10:11], 0
	s_mov_b32 s17, -1
	s_cselect_b32 s1, -1, 0
	s_delay_alu instid0(SALU_CYCLE_1)
	s_and_b32 s1, s1, s41
	s_barrier_signal -1
	s_and_b32 vcc_lo, exec_lo, s1
	s_mov_b32 s1, -1
	s_barrier_wait -1
	s_cbranch_vccz .LBB33_64
; %bb.44:                               ;   in Loop: Header=BB33_4 Depth=1
	s_load_b64 s[12:13], s[22:23], 0xc
	s_wait_kmcnt 0x0
	s_and_b32 s1, s12, 0xffff
	s_lshr_b32 s2, s12, 16
	v_mad_u32_u24 v0, v7, s1, v6
	s_mul_i32 s35, s2, s1
	s_and_b32 s1, s13, 0xffff
	s_cmp_lt_i32 s46, 0
	s_cselect_b32 s34, s20, s46
	v_mad_u32 v0, s35, v8, v0
	s_cmp_eq_u32 s34, 0
	s_mul_i32 s35, s35, s1
	s_cbranch_scc1 .LBB33_55
; %bb.45:                               ;   in Loop: Header=BB33_4 Depth=1
	s_delay_alu instid0(VALU_DEP_1)
	v_cmp_eq_u32_e64 s1, 0, v0
	v_cmp_gt_u32_e64 s2, s20, v0
	s_mov_b32 s18, 0
	s_branch .LBB33_47
.LBB33_46:                              ;   in Loop: Header=BB33_47 Depth=2
	s_add_co_i32 s18, s18, 1
	s_delay_alu instid0(SALU_CYCLE_1)
	s_cmp_eq_u32 s18, s34
	s_cbranch_scc1 .LBB33_55
.LBB33_47:                              ;   Parent Loop BB33_4 Depth=1
                                        ; =>  This Loop Header: Depth=2
                                        ;       Child Loop BB33_50 Depth 3
                                        ;         Child Loop BB33_54 Depth 4
	v_mov_b32_e32 v2, s18
	s_barrier_signal -1
	s_barrier_wait -1
	global_load_b32 v2, v2, s[30:31] scale_offset
	s_wait_loadcnt 0x0
	v_cmp_eq_u32_e32 vcc_lo, s18, v2
	s_cbranch_vccnz .LBB33_46
; %bb.48:                               ;   in Loop: Header=BB33_47 Depth=2
	s_lshl_b64 s[12:13], s[18:19], 2
	s_delay_alu instid0(SALU_CYCLE_1)
	s_add_nc_u64 s[12:13], s[30:31], s[12:13]
	s_branch .LBB33_50
.LBB33_49:                              ;   in Loop: Header=BB33_50 Depth=3
	s_or_b32 exec_lo, exec_lo, s46
	s_wait_storecnt 0x0
	s_barrier_signal -1
	s_barrier_wait -1
	global_load_b32 v2, v1, s[12:13]
	s_wait_loadcnt 0x0
	v_cmp_eq_u32_e32 vcc_lo, s18, v2
	s_cbranch_vccnz .LBB33_46
.LBB33_50:                              ;   Parent Loop BB33_4 Depth=1
                                        ;     Parent Loop BB33_47 Depth=2
                                        ; =>    This Loop Header: Depth=3
                                        ;         Child Loop BB33_54 Depth 4
	global_load_b32 v4, v2, s[30:31] scale_offset
	v_ashrrev_i32_e32 v3, 31, v2
	s_wait_loadcnt 0x0
	s_barrier_signal -1
	s_barrier_wait -1
	s_wait_xcnt 0x0
	s_and_saveexec_b32 s46, s1
	s_cbranch_execz .LBB33_52
; %bb.51:                               ;   in Loop: Header=BB33_50 Depth=3
	v_lshlrev_b64_e32 v[10:11], 2, v[2:3]
	s_delay_alu instid0(VALU_DEP_1)
	v_add_nc_u64_e32 v[10:11], s[30:31], v[10:11]
	s_clause 0x1
	global_store_b32 v[10:11], v2, off
	global_store_b32 v1, v4, s[12:13]
.LBB33_52:                              ;   in Loop: Header=BB33_50 Depth=3
	s_wait_xcnt 0x0
	s_or_b32 exec_lo, exec_lo, s46
	s_wait_storecnt 0x0
	s_barrier_signal -1
	s_barrier_wait -1
	s_and_saveexec_b32 s46, s2
	s_cbranch_execz .LBB33_49
; %bb.53:                               ;   in Loop: Header=BB33_50 Depth=3
	v_dual_ashrrev_i32 v5, 31, v4 :: v_dual_mov_b32 v9, v0
	v_mul_u64_e32 v[2:3], s[26:27], v[2:3]
	s_mov_b32 s47, 0
	s_delay_alu instid0(VALU_DEP_2) | instskip(NEXT) | instid1(VALU_DEP_2)
	v_mul_u64_e32 v[4:5], s[26:27], v[4:5]
	v_lshlrev_b64_e32 v[2:3], 3, v[2:3]
	s_delay_alu instid0(VALU_DEP_2) | instskip(NEXT) | instid1(VALU_DEP_2)
	v_lshlrev_b64_e32 v[4:5], 3, v[4:5]
	v_add_nc_u64_e32 v[2:3], s[10:11], v[2:3]
	s_delay_alu instid0(VALU_DEP_2)
	v_add_nc_u64_e32 v[4:5], s[10:11], v[4:5]
.LBB33_54:                              ;   Parent Loop BB33_4 Depth=1
                                        ;     Parent Loop BB33_47 Depth=2
                                        ;       Parent Loop BB33_50 Depth=3
                                        ; =>      This Inner Loop Header: Depth=4
	s_delay_alu instid0(VALU_DEP_1) | instskip(NEXT) | instid1(VALU_DEP_2)
	v_readfirstlane_b32 s50, v4
	v_readfirstlane_b32 s51, v5
	s_delay_alu instid0(VALU_DEP_4)
	v_readfirstlane_b32 s48, v2
	v_readfirstlane_b32 s49, v3
	s_clause 0x1
	global_load_b64 v[10:11], v9, s[50:51] scale_offset
	global_load_b64 v[12:13], v9, s[48:49] scale_offset
	s_wait_loadcnt 0x1
	global_store_b64 v9, v[10:11], s[48:49] scale_offset
	s_wait_loadcnt 0x0
	global_store_b64 v9, v[12:13], s[50:51] scale_offset
	s_wait_xcnt 0x0
	v_add_nc_u32_e32 v9, s35, v9
	s_delay_alu instid0(VALU_DEP_1) | instskip(SKIP_1) | instid1(SALU_CYCLE_1)
	v_cmp_le_u32_e32 vcc_lo, s20, v9
	s_or_b32 s47, vcc_lo, s47
	s_and_not1_b32 exec_lo, exec_lo, s47
	s_cbranch_execnz .LBB33_54
	s_branch .LBB33_49
.LBB33_55:                              ;   in Loop: Header=BB33_4 Depth=1
	s_mov_b32 s2, -1
	s_mov_b32 s1, exec_lo
	s_barrier_signal -1
	s_barrier_wait -1
	s_delay_alu instid0(VALU_DEP_1)
	v_cmpx_gt_u32_e64 s34, v0
	s_cbranch_execz .LBB33_61
; %bb.56:                               ;   in Loop: Header=BB33_4 Depth=1
	s_mov_b32 s2, 0
                                        ; implicit-def: $sgpr10
                                        ; implicit-def: $sgpr12
                                        ; implicit-def: $sgpr11
	s_branch .LBB33_58
.LBB33_57:                              ;   in Loop: Header=BB33_58 Depth=2
	s_or_b32 exec_lo, exec_lo, s13
	s_xor_b32 s13, s11, -1
	s_and_b32 s18, exec_lo, s12
	s_delay_alu instid0(SALU_CYCLE_1) | instskip(SKIP_2) | instid1(SALU_CYCLE_1)
	s_or_b32 s2, s18, s2
	s_and_not1_b32 s10, s10, exec_lo
	s_and_b32 s13, s13, exec_lo
	s_or_b32 s10, s10, s13
	s_and_not1_b32 exec_lo, exec_lo, s2
	s_cbranch_execz .LBB33_60
.LBB33_58:                              ;   Parent Loop BB33_4 Depth=1
                                        ; =>  This Inner Loop Header: Depth=2
	global_load_b32 v2, v0, s[30:31] scale_offset
	s_or_b32 s11, s11, exec_lo
	s_or_b32 s12, s12, exec_lo
	s_mov_b32 s13, exec_lo
	s_wait_loadcnt 0x0
	v_cmpx_eq_u32_e64 v0, v2
	s_cbranch_execz .LBB33_57
; %bb.59:                               ;   in Loop: Header=BB33_58 Depth=2
	v_add_nc_u32_e32 v0, s35, v0
	s_and_not1_b32 s12, s12, exec_lo
	s_and_not1_b32 s11, s11, exec_lo
	s_delay_alu instid0(VALU_DEP_1) | instskip(SKIP_1) | instid1(SALU_CYCLE_1)
	v_cmp_le_u32_e32 vcc_lo, s34, v0
	s_and_b32 s18, vcc_lo, exec_lo
	s_or_b32 s12, s12, s18
	s_branch .LBB33_57
.LBB33_60:                              ;   in Loop: Header=BB33_4 Depth=1
	s_or_b32 exec_lo, exec_lo, s2
	s_delay_alu instid0(SALU_CYCLE_1)
	s_or_not1_b32 s2, s10, exec_lo
.LBB33_61:                              ;   in Loop: Header=BB33_4 Depth=1
	s_or_b32 exec_lo, exec_lo, s1
	s_mov_b32 s1, 0
	s_and_saveexec_b32 s10, s2
	s_cbranch_execz .LBB33_63
; %bb.62:                               ;   in Loop: Header=BB33_4 Depth=1
	s_mov_b32 s1, exec_lo
	s_barrier_signal -1
	s_barrier_wait -1
.LBB33_63:                              ;   in Loop: Header=BB33_4 Depth=1
	s_or_b32 exec_lo, exec_lo, s10
.LBB33_64:                              ;   in Loop: Header=BB33_4 Depth=1
	s_mov_b32 s10, -1
	s_and_saveexec_b32 s2, s1
	s_cbranch_execz .LBB33_2
; %bb.65:                               ;   in Loop: Header=BB33_4 Depth=1
	s_add_co_i32 s16, s16, s36
	s_delay_alu instid0(SALU_CYCLE_1)
	s_cmp_ge_i32 s16, s33
	s_barrier_signal -1
	s_cselect_b32 s1, -1, 0
	s_xor_b32 s10, exec_lo, -1
	s_or_not1_b32 s17, s1, exec_lo
	s_barrier_wait -1
	s_branch .LBB33_2
.LBB33_66:
	s_or_b32 exec_lo, exec_lo, s42
	s_xor_b32 s0, s43, -1
	s_mov_b32 s21, 0
	s_and_saveexec_b32 s1, s0
	s_delay_alu instid0(SALU_CYCLE_1)
	s_xor_b32 s24, exec_lo, s1
	s_cbranch_execnz .LBB33_71
; %bb.67:
	s_and_not1_saveexec_b32 s24, s24
	s_cbranch_execnz .LBB33_74
.LBB33_68:
	s_or_b32 exec_lo, exec_lo, s24
	s_and_saveexec_b32 s0, s21
.LBB33_69:
	; divergent unreachable
.LBB33_70:
	s_endpgm
.LBB33_71:
	s_mov_b32 s0, 0
	s_and_saveexec_b32 s1, s40
	s_delay_alu instid0(SALU_CYCLE_1)
	s_xor_b32 s21, exec_lo, s1
	s_cbranch_execz .LBB33_73
; %bb.72:
	s_get_pc_i64 s[0:1]
	s_add_nc_u64 s[0:1], s[0:1], .str.8@rel64+4
	s_get_pc_i64 s[2:3]
	s_add_nc_u64 s[2:3], s[2:3], __PRETTY_FUNCTION__._ZN9rocsolver6v33100L12permute_swapI19rocblas_complex_numIfEiEEvT0_PT_S4_PS4_S4_@rel64+4
	v_dual_mov_b32 v0, s0 :: v_dual_mov_b32 v1, s1
	v_dual_mov_b32 v2, 0x25b :: v_dual_mov_b32 v3, s2
	v_mov_b32_e32 v4, s3
	s_get_pc_i64 s[4:5]
	s_add_nc_u64 s[4:5], s[4:5], __assert_fail@rel64+4
	s_mov_b64 s[8:9], s[22:23]
	s_swap_pc_i64 s[30:31], s[4:5]
	s_mov_b32 s0, exec_lo
.LBB33_73:
	s_or_b32 exec_lo, exec_lo, s21
	s_delay_alu instid0(SALU_CYCLE_1)
	s_and_b32 s21, s0, exec_lo
	s_and_not1_saveexec_b32 s24, s24
	s_cbranch_execz .LBB33_68
.LBB33_74:
	s_get_pc_i64 s[0:1]
	s_add_nc_u64 s[0:1], s[0:1], .str.5@rel64+4
	s_get_pc_i64 s[2:3]
	s_add_nc_u64 s[2:3], s[2:3], __PRETTY_FUNCTION__._ZN9rocsolver6v33100L20shell_sort_ascendingIfiEEvT0_PT_PS2_@rel64+4
	v_dual_mov_b32 v0, s0 :: v_dual_mov_b32 v1, s1
	v_dual_mov_b32 v2, 0xea :: v_dual_mov_b32 v3, s2
	v_mov_b32_e32 v4, s3
	s_get_pc_i64 s[4:5]
	s_add_nc_u64 s[4:5], s[4:5], __assert_fail@rel64+4
	s_mov_b64 s[8:9], s[22:23]
	s_swap_pc_i64 s[30:31], s[4:5]
	s_or_b32 s21, s21, exec_lo
	s_or_b32 exec_lo, exec_lo, s24
	s_and_saveexec_b32 s0, s21
	s_cbranch_execnz .LBB33_69
	s_branch .LBB33_70
	.section	.rodata,"a",@progbits
	.p2align	6, 0x0
	.amdhsa_kernel _ZN9rocsolver6v33100L11stedcx_sortI19rocblas_complex_numIfEfPS3_EEviPT0_lT1_iiliPiS8_
		.amdhsa_group_segment_fixed_size 0
		.amdhsa_private_segment_fixed_size 64
		.amdhsa_kernarg_size 328
		.amdhsa_user_sgpr_count 2
		.amdhsa_user_sgpr_dispatch_ptr 0
		.amdhsa_user_sgpr_queue_ptr 0
		.amdhsa_user_sgpr_kernarg_segment_ptr 1
		.amdhsa_user_sgpr_dispatch_id 0
		.amdhsa_user_sgpr_kernarg_preload_length 0
		.amdhsa_user_sgpr_kernarg_preload_offset 0
		.amdhsa_user_sgpr_private_segment_size 0
		.amdhsa_wavefront_size32 1
		.amdhsa_uses_dynamic_stack 0
		.amdhsa_enable_private_segment 1
		.amdhsa_system_sgpr_workgroup_id_x 1
		.amdhsa_system_sgpr_workgroup_id_y 0
		.amdhsa_system_sgpr_workgroup_id_z 1
		.amdhsa_system_sgpr_workgroup_info 0
		.amdhsa_system_vgpr_workitem_id 2
		.amdhsa_next_free_vgpr 53
		.amdhsa_next_free_sgpr 54
		.amdhsa_named_barrier_count 0
		.amdhsa_reserve_vcc 1
		.amdhsa_float_round_mode_32 0
		.amdhsa_float_round_mode_16_64 0
		.amdhsa_float_denorm_mode_32 3
		.amdhsa_float_denorm_mode_16_64 3
		.amdhsa_fp16_overflow 0
		.amdhsa_memory_ordered 1
		.amdhsa_forward_progress 1
		.amdhsa_inst_pref_size 19
		.amdhsa_round_robin_scheduling 0
		.amdhsa_exception_fp_ieee_invalid_op 0
		.amdhsa_exception_fp_denorm_src 0
		.amdhsa_exception_fp_ieee_div_zero 0
		.amdhsa_exception_fp_ieee_overflow 0
		.amdhsa_exception_fp_ieee_underflow 0
		.amdhsa_exception_fp_ieee_inexact 0
		.amdhsa_exception_int_div_zero 0
	.end_amdhsa_kernel
	.section	.text._ZN9rocsolver6v33100L11stedcx_sortI19rocblas_complex_numIfEfPS3_EEviPT0_lT1_iiliPiS8_,"axG",@progbits,_ZN9rocsolver6v33100L11stedcx_sortI19rocblas_complex_numIfEfPS3_EEviPT0_lT1_iiliPiS8_,comdat
.Lfunc_end33:
	.size	_ZN9rocsolver6v33100L11stedcx_sortI19rocblas_complex_numIfEfPS3_EEviPT0_lT1_iiliPiS8_, .Lfunc_end33-_ZN9rocsolver6v33100L11stedcx_sortI19rocblas_complex_numIfEfPS3_EEviPT0_lT1_iiliPiS8_
                                        ; -- End function
	.set _ZN9rocsolver6v33100L11stedcx_sortI19rocblas_complex_numIfEfPS3_EEviPT0_lT1_iiliPiS8_.num_vgpr, max(14, .L__assert_fail.num_vgpr)
	.set _ZN9rocsolver6v33100L11stedcx_sortI19rocblas_complex_numIfEfPS3_EEviPT0_lT1_iiliPiS8_.num_agpr, max(0, .L__assert_fail.num_agpr)
	.set _ZN9rocsolver6v33100L11stedcx_sortI19rocblas_complex_numIfEfPS3_EEviPT0_lT1_iiliPiS8_.numbered_sgpr, max(54, .L__assert_fail.numbered_sgpr)
	.set _ZN9rocsolver6v33100L11stedcx_sortI19rocblas_complex_numIfEfPS3_EEviPT0_lT1_iiliPiS8_.num_named_barrier, max(0, .L__assert_fail.num_named_barrier)
	.set _ZN9rocsolver6v33100L11stedcx_sortI19rocblas_complex_numIfEfPS3_EEviPT0_lT1_iiliPiS8_.private_seg_size, 0+max(.L__assert_fail.private_seg_size)
	.set _ZN9rocsolver6v33100L11stedcx_sortI19rocblas_complex_numIfEfPS3_EEviPT0_lT1_iiliPiS8_.uses_vcc, or(1, .L__assert_fail.uses_vcc)
	.set _ZN9rocsolver6v33100L11stedcx_sortI19rocblas_complex_numIfEfPS3_EEviPT0_lT1_iiliPiS8_.uses_flat_scratch, or(0, .L__assert_fail.uses_flat_scratch)
	.set _ZN9rocsolver6v33100L11stedcx_sortI19rocblas_complex_numIfEfPS3_EEviPT0_lT1_iiliPiS8_.has_dyn_sized_stack, or(0, .L__assert_fail.has_dyn_sized_stack)
	.set _ZN9rocsolver6v33100L11stedcx_sortI19rocblas_complex_numIfEfPS3_EEviPT0_lT1_iiliPiS8_.has_recursion, or(0, .L__assert_fail.has_recursion)
	.set _ZN9rocsolver6v33100L11stedcx_sortI19rocblas_complex_numIfEfPS3_EEviPT0_lT1_iiliPiS8_.has_indirect_call, or(0, .L__assert_fail.has_indirect_call)
	.section	.AMDGPU.csdata,"",@progbits
; Kernel info:
; codeLenInByte = 2408
; TotalNumSgprs: 56
; NumVgprs: 53
; ScratchSize: 64
; MemoryBound: 0
; FloatMode: 240
; IeeeMode: 1
; LDSByteSize: 0 bytes/workgroup (compile time only)
; SGPRBlocks: 0
; VGPRBlocks: 3
; NumSGPRsForWavesPerEU: 56
; NumVGPRsForWavesPerEU: 53
; NamedBarCnt: 0
; Occupancy: 16
; WaveLimiterHint : 1
; COMPUTE_PGM_RSRC2:SCRATCH_EN: 1
; COMPUTE_PGM_RSRC2:USER_SGPR: 2
; COMPUTE_PGM_RSRC2:TRAP_HANDLER: 0
; COMPUTE_PGM_RSRC2:TGID_X_EN: 1
; COMPUTE_PGM_RSRC2:TGID_Y_EN: 0
; COMPUTE_PGM_RSRC2:TGID_Z_EN: 1
; COMPUTE_PGM_RSRC2:TIDIG_COMP_CNT: 2
	.section	.text._ZN9rocsolver6v33100L16reset_batch_infoI19rocblas_complex_numIdEiiPS3_EEvT2_lT0_T1_,"axG",@progbits,_ZN9rocsolver6v33100L16reset_batch_infoI19rocblas_complex_numIdEiiPS3_EEvT2_lT0_T1_,comdat
	.globl	_ZN9rocsolver6v33100L16reset_batch_infoI19rocblas_complex_numIdEiiPS3_EEvT2_lT0_T1_ ; -- Begin function _ZN9rocsolver6v33100L16reset_batch_infoI19rocblas_complex_numIdEiiPS3_EEvT2_lT0_T1_
	.p2align	8
	.type	_ZN9rocsolver6v33100L16reset_batch_infoI19rocblas_complex_numIdEiiPS3_EEvT2_lT0_T1_,@function
_ZN9rocsolver6v33100L16reset_batch_infoI19rocblas_complex_numIdEiiPS3_EEvT2_lT0_T1_: ; @_ZN9rocsolver6v33100L16reset_batch_infoI19rocblas_complex_numIdEiiPS3_EEvT2_lT0_T1_
; %bb.0:
	s_clause 0x1
	s_load_b32 s5, s[0:1], 0x24
	s_load_b64 s[2:3], s[0:1], 0x10
	s_bfe_u32 s4, ttmp6, 0x4000c
	s_and_b32 s6, ttmp6, 15
	s_add_co_i32 s7, s4, 1
	s_getreg_b32 s4, hwreg(HW_REG_IB_STS2, 6, 4)
	s_mul_i32 s7, ttmp9, s7
	s_delay_alu instid0(SALU_CYCLE_1) | instskip(SKIP_4) | instid1(SALU_CYCLE_1)
	s_add_co_i32 s6, s6, s7
	s_wait_kmcnt 0x0
	s_and_b32 s5, s5, 0xffff
	s_cmp_eq_u32 s4, 0
	s_cselect_b32 s6, ttmp9, s6
	v_mad_u32 v0, s6, s5, v0
	s_delay_alu instid0(VALU_DEP_1)
	v_cmp_gt_i32_e32 vcc_lo, s2, v0
	s_and_saveexec_b32 s2, vcc_lo
	s_cbranch_execz .LBB34_2
; %bb.1:
	v_cvt_f64_i32_e32 v[2:3], s3
	s_load_b128 s[0:3], s[0:1], 0x0
	s_bfe_u32 s5, ttmp6, 0x40010
	s_bfe_u32 s6, ttmp6, 0x40004
	s_add_co_i32 s5, s5, 1
	v_mov_b32_e32 v4, 0
	s_mul_i32 s5, ttmp7, s5
	s_delay_alu instid0(SALU_CYCLE_1) | instskip(SKIP_1) | instid1(VALU_DEP_1)
	s_add_co_i32 s6, s6, s5
	s_cmp_eq_u32 s4, 0
	v_mov_b32_e32 v5, v4
	s_cselect_b32 s4, ttmp7, s6
	s_delay_alu instid0(SALU_CYCLE_1) | instskip(SKIP_2) | instid1(SALU_CYCLE_1)
	s_ashr_i32 s5, s4, 31
	s_wait_kmcnt 0x0
	s_mul_u64 s[2:3], s[2:3], s[4:5]
	s_lshl_b64 s[2:3], s[2:3], 4
	s_delay_alu instid0(SALU_CYCLE_1)
	s_add_nc_u64 s[0:1], s[0:1], s[2:3]
	global_store_b128 v0, v[2:5], s[0:1] scale_offset
.LBB34_2:
	s_endpgm
	.section	.rodata,"a",@progbits
	.p2align	6, 0x0
	.amdhsa_kernel _ZN9rocsolver6v33100L16reset_batch_infoI19rocblas_complex_numIdEiiPS3_EEvT2_lT0_T1_
		.amdhsa_group_segment_fixed_size 0
		.amdhsa_private_segment_fixed_size 0
		.amdhsa_kernarg_size 280
		.amdhsa_user_sgpr_count 2
		.amdhsa_user_sgpr_dispatch_ptr 0
		.amdhsa_user_sgpr_queue_ptr 0
		.amdhsa_user_sgpr_kernarg_segment_ptr 1
		.amdhsa_user_sgpr_dispatch_id 0
		.amdhsa_user_sgpr_kernarg_preload_length 0
		.amdhsa_user_sgpr_kernarg_preload_offset 0
		.amdhsa_user_sgpr_private_segment_size 0
		.amdhsa_wavefront_size32 1
		.amdhsa_uses_dynamic_stack 0
		.amdhsa_enable_private_segment 0
		.amdhsa_system_sgpr_workgroup_id_x 1
		.amdhsa_system_sgpr_workgroup_id_y 1
		.amdhsa_system_sgpr_workgroup_id_z 0
		.amdhsa_system_sgpr_workgroup_info 0
		.amdhsa_system_vgpr_workitem_id 0
		.amdhsa_next_free_vgpr 6
		.amdhsa_next_free_sgpr 8
		.amdhsa_named_barrier_count 0
		.amdhsa_reserve_vcc 1
		.amdhsa_float_round_mode_32 0
		.amdhsa_float_round_mode_16_64 0
		.amdhsa_float_denorm_mode_32 3
		.amdhsa_float_denorm_mode_16_64 3
		.amdhsa_fp16_overflow 0
		.amdhsa_memory_ordered 1
		.amdhsa_forward_progress 1
		.amdhsa_inst_pref_size 2
		.amdhsa_round_robin_scheduling 0
		.amdhsa_exception_fp_ieee_invalid_op 0
		.amdhsa_exception_fp_denorm_src 0
		.amdhsa_exception_fp_ieee_div_zero 0
		.amdhsa_exception_fp_ieee_overflow 0
		.amdhsa_exception_fp_ieee_underflow 0
		.amdhsa_exception_fp_ieee_inexact 0
		.amdhsa_exception_int_div_zero 0
	.end_amdhsa_kernel
	.section	.text._ZN9rocsolver6v33100L16reset_batch_infoI19rocblas_complex_numIdEiiPS3_EEvT2_lT0_T1_,"axG",@progbits,_ZN9rocsolver6v33100L16reset_batch_infoI19rocblas_complex_numIdEiiPS3_EEvT2_lT0_T1_,comdat
.Lfunc_end34:
	.size	_ZN9rocsolver6v33100L16reset_batch_infoI19rocblas_complex_numIdEiiPS3_EEvT2_lT0_T1_, .Lfunc_end34-_ZN9rocsolver6v33100L16reset_batch_infoI19rocblas_complex_numIdEiiPS3_EEvT2_lT0_T1_
                                        ; -- End function
	.set _ZN9rocsolver6v33100L16reset_batch_infoI19rocblas_complex_numIdEiiPS3_EEvT2_lT0_T1_.num_vgpr, 6
	.set _ZN9rocsolver6v33100L16reset_batch_infoI19rocblas_complex_numIdEiiPS3_EEvT2_lT0_T1_.num_agpr, 0
	.set _ZN9rocsolver6v33100L16reset_batch_infoI19rocblas_complex_numIdEiiPS3_EEvT2_lT0_T1_.numbered_sgpr, 8
	.set _ZN9rocsolver6v33100L16reset_batch_infoI19rocblas_complex_numIdEiiPS3_EEvT2_lT0_T1_.num_named_barrier, 0
	.set _ZN9rocsolver6v33100L16reset_batch_infoI19rocblas_complex_numIdEiiPS3_EEvT2_lT0_T1_.private_seg_size, 0
	.set _ZN9rocsolver6v33100L16reset_batch_infoI19rocblas_complex_numIdEiiPS3_EEvT2_lT0_T1_.uses_vcc, 1
	.set _ZN9rocsolver6v33100L16reset_batch_infoI19rocblas_complex_numIdEiiPS3_EEvT2_lT0_T1_.uses_flat_scratch, 0
	.set _ZN9rocsolver6v33100L16reset_batch_infoI19rocblas_complex_numIdEiiPS3_EEvT2_lT0_T1_.has_dyn_sized_stack, 0
	.set _ZN9rocsolver6v33100L16reset_batch_infoI19rocblas_complex_numIdEiiPS3_EEvT2_lT0_T1_.has_recursion, 0
	.set _ZN9rocsolver6v33100L16reset_batch_infoI19rocblas_complex_numIdEiiPS3_EEvT2_lT0_T1_.has_indirect_call, 0
	.section	.AMDGPU.csdata,"",@progbits
; Kernel info:
; codeLenInByte = 200
; TotalNumSgprs: 10
; NumVgprs: 6
; ScratchSize: 0
; MemoryBound: 0
; FloatMode: 240
; IeeeMode: 1
; LDSByteSize: 0 bytes/workgroup (compile time only)
; SGPRBlocks: 0
; VGPRBlocks: 0
; NumSGPRsForWavesPerEU: 10
; NumVGPRsForWavesPerEU: 6
; NamedBarCnt: 0
; Occupancy: 16
; WaveLimiterHint : 0
; COMPUTE_PGM_RSRC2:SCRATCH_EN: 0
; COMPUTE_PGM_RSRC2:USER_SGPR: 2
; COMPUTE_PGM_RSRC2:TRAP_HANDLER: 0
; COMPUTE_PGM_RSRC2:TGID_X_EN: 1
; COMPUTE_PGM_RSRC2:TGID_Y_EN: 1
; COMPUTE_PGM_RSRC2:TGID_Z_EN: 0
; COMPUTE_PGM_RSRC2:TIDIG_COMP_CNT: 0
	.section	.text._ZN9rocsolver6v33100L10init_identI19rocblas_complex_numIdEPS3_EEviiT0_iil,"axG",@progbits,_ZN9rocsolver6v33100L10init_identI19rocblas_complex_numIdEPS3_EEviiT0_iil,comdat
	.globl	_ZN9rocsolver6v33100L10init_identI19rocblas_complex_numIdEPS3_EEviiT0_iil ; -- Begin function _ZN9rocsolver6v33100L10init_identI19rocblas_complex_numIdEPS3_EEviiT0_iil
	.p2align	8
	.type	_ZN9rocsolver6v33100L10init_identI19rocblas_complex_numIdEPS3_EEviiT0_iil,@function
_ZN9rocsolver6v33100L10init_identI19rocblas_complex_numIdEPS3_EEviiT0_iil: ; @_ZN9rocsolver6v33100L10init_identI19rocblas_complex_numIdEPS3_EEviiT0_iil
; %bb.0:
	s_clause 0x1
	s_load_b32 s5, s[0:1], 0x2c
	s_load_b64 s[2:3], s[0:1], 0x0
	s_bfe_u32 s7, ttmp6, 0x40010
	s_bfe_u32 s10, ttmp6, 0x4000c
	s_and_b32 s6, ttmp7, 0xffff
	s_add_co_i32 s7, s7, 1
	s_add_co_i32 s10, s10, 1
	s_bfe_u32 s8, ttmp6, 0x40004
	s_and_b32 s9, ttmp6, 15
	s_mul_i32 s7, s6, s7
	s_mul_i32 s10, ttmp9, s10
	s_getreg_b32 s4, hwreg(HW_REG_IB_STS2, 6, 4)
	v_and_b32_e32 v1, 0x3ff, v0
	v_bfe_u32 v0, v0, 10, 10
	s_add_co_i32 s8, s8, s7
	s_add_co_i32 s9, s9, s10
	s_wait_kmcnt 0x0
	s_lshr_b32 s7, s5, 16
	s_and_b32 s5, s5, 0xffff
	s_cmp_eq_u32 s4, 0
	s_cselect_b32 s9, ttmp9, s9
	s_cselect_b32 s6, s6, s8
	v_mad_u32 v2, s9, s5, v1
	v_mad_u32 v0, s6, s7, v0
	s_delay_alu instid0(VALU_DEP_2) | instskip(NEXT) | instid1(VALU_DEP_2)
	v_cmp_gt_u32_e32 vcc_lo, s2, v2
	v_cmp_gt_u32_e64 s2, s3, v0
	s_and_b32 s2, vcc_lo, s2
	s_delay_alu instid0(SALU_CYCLE_1)
	s_and_saveexec_b32 s3, s2
	s_cbranch_execz .LBB35_6
; %bb.1:
	s_load_b64 s[2:3], s[0:1], 0x10
	s_mov_b32 s5, exec_lo
                                        ; implicit-def: $vgpr4
	v_cmpx_ne_u32_e64 v2, v0
	s_xor_b32 s5, exec_lo, s5
	s_cbranch_execz .LBB35_3
; %bb.2:
	s_wait_kmcnt 0x0
	v_mad_u32 v4, v0, s3, v2
                                        ; implicit-def: $vgpr2
.LBB35_3:
	s_or_saveexec_b32 s5, s5
	v_mov_b64_e32 v[0:1], 0
	s_xor_b32 exec_lo, exec_lo, s5
	s_cbranch_execz .LBB35_5
; %bb.4:
	s_wait_kmcnt 0x0
	v_mad_u32 v4, v2, s3, v2
	v_mov_b64_e32 v[0:1], 1.0
.LBB35_5:
	s_or_b32 exec_lo, exec_lo, s5
	s_clause 0x1
	s_load_b64 s[6:7], s[0:1], 0x18
	s_load_b64 s[8:9], s[0:1], 0x8
	s_wait_xcnt 0x0
	s_bfe_u32 s0, ttmp6, 0x40014
	s_lshr_b32 s5, ttmp7, 16
	s_add_co_i32 s0, s0, 1
	s_bfe_u32 s10, ttmp6, 0x40008
	s_mul_i32 s0, s5, s0
	s_wait_kmcnt 0x0
	s_ashr_i32 s3, s2, 31
	s_add_co_i32 s10, s10, s0
	s_cmp_eq_u32 s4, 0
	s_mov_b32 s1, 0
	v_mov_b32_e32 v2, 0
	s_cselect_b32 s0, s5, s10
	s_lshl_b64 s[2:3], s[2:3], 4
	s_delay_alu instid0(VALU_DEP_1) | instskip(SKIP_1) | instid1(SALU_CYCLE_1)
	v_mov_b32_e32 v3, v2
	s_mul_u64 s[0:1], s[6:7], s[0:1]
	s_lshl_b64 s[0:1], s[0:1], 4
	s_delay_alu instid0(SALU_CYCLE_1) | instskip(NEXT) | instid1(SALU_CYCLE_1)
	s_add_nc_u64 s[0:1], s[8:9], s[0:1]
	s_add_nc_u64 s[0:1], s[0:1], s[2:3]
	global_store_b128 v4, v[0:3], s[0:1] scale_offset
.LBB35_6:
	s_endpgm
	.section	.rodata,"a",@progbits
	.p2align	6, 0x0
	.amdhsa_kernel _ZN9rocsolver6v33100L10init_identI19rocblas_complex_numIdEPS3_EEviiT0_iil
		.amdhsa_group_segment_fixed_size 0
		.amdhsa_private_segment_fixed_size 0
		.amdhsa_kernarg_size 288
		.amdhsa_user_sgpr_count 2
		.amdhsa_user_sgpr_dispatch_ptr 0
		.amdhsa_user_sgpr_queue_ptr 0
		.amdhsa_user_sgpr_kernarg_segment_ptr 1
		.amdhsa_user_sgpr_dispatch_id 0
		.amdhsa_user_sgpr_kernarg_preload_length 0
		.amdhsa_user_sgpr_kernarg_preload_offset 0
		.amdhsa_user_sgpr_private_segment_size 0
		.amdhsa_wavefront_size32 1
		.amdhsa_uses_dynamic_stack 0
		.amdhsa_enable_private_segment 0
		.amdhsa_system_sgpr_workgroup_id_x 1
		.amdhsa_system_sgpr_workgroup_id_y 1
		.amdhsa_system_sgpr_workgroup_id_z 1
		.amdhsa_system_sgpr_workgroup_info 0
		.amdhsa_system_vgpr_workitem_id 1
		.amdhsa_next_free_vgpr 5
		.amdhsa_next_free_sgpr 11
		.amdhsa_named_barrier_count 0
		.amdhsa_reserve_vcc 1
		.amdhsa_float_round_mode_32 0
		.amdhsa_float_round_mode_16_64 0
		.amdhsa_float_denorm_mode_32 3
		.amdhsa_float_denorm_mode_16_64 3
		.amdhsa_fp16_overflow 0
		.amdhsa_memory_ordered 1
		.amdhsa_forward_progress 1
		.amdhsa_inst_pref_size 3
		.amdhsa_round_robin_scheduling 0
		.amdhsa_exception_fp_ieee_invalid_op 0
		.amdhsa_exception_fp_denorm_src 0
		.amdhsa_exception_fp_ieee_div_zero 0
		.amdhsa_exception_fp_ieee_overflow 0
		.amdhsa_exception_fp_ieee_underflow 0
		.amdhsa_exception_fp_ieee_inexact 0
		.amdhsa_exception_int_div_zero 0
	.end_amdhsa_kernel
	.section	.text._ZN9rocsolver6v33100L10init_identI19rocblas_complex_numIdEPS3_EEviiT0_iil,"axG",@progbits,_ZN9rocsolver6v33100L10init_identI19rocblas_complex_numIdEPS3_EEviiT0_iil,comdat
.Lfunc_end35:
	.size	_ZN9rocsolver6v33100L10init_identI19rocblas_complex_numIdEPS3_EEviiT0_iil, .Lfunc_end35-_ZN9rocsolver6v33100L10init_identI19rocblas_complex_numIdEPS3_EEviiT0_iil
                                        ; -- End function
	.set _ZN9rocsolver6v33100L10init_identI19rocblas_complex_numIdEPS3_EEviiT0_iil.num_vgpr, 5
	.set _ZN9rocsolver6v33100L10init_identI19rocblas_complex_numIdEPS3_EEviiT0_iil.num_agpr, 0
	.set _ZN9rocsolver6v33100L10init_identI19rocblas_complex_numIdEPS3_EEviiT0_iil.numbered_sgpr, 11
	.set _ZN9rocsolver6v33100L10init_identI19rocblas_complex_numIdEPS3_EEviiT0_iil.num_named_barrier, 0
	.set _ZN9rocsolver6v33100L10init_identI19rocblas_complex_numIdEPS3_EEviiT0_iil.private_seg_size, 0
	.set _ZN9rocsolver6v33100L10init_identI19rocblas_complex_numIdEPS3_EEviiT0_iil.uses_vcc, 1
	.set _ZN9rocsolver6v33100L10init_identI19rocblas_complex_numIdEPS3_EEviiT0_iil.uses_flat_scratch, 0
	.set _ZN9rocsolver6v33100L10init_identI19rocblas_complex_numIdEPS3_EEviiT0_iil.has_dyn_sized_stack, 0
	.set _ZN9rocsolver6v33100L10init_identI19rocblas_complex_numIdEPS3_EEviiT0_iil.has_recursion, 0
	.set _ZN9rocsolver6v33100L10init_identI19rocblas_complex_numIdEPS3_EEviiT0_iil.has_indirect_call, 0
	.section	.AMDGPU.csdata,"",@progbits
; Kernel info:
; codeLenInByte = 380
; TotalNumSgprs: 13
; NumVgprs: 5
; ScratchSize: 0
; MemoryBound: 0
; FloatMode: 240
; IeeeMode: 1
; LDSByteSize: 0 bytes/workgroup (compile time only)
; SGPRBlocks: 0
; VGPRBlocks: 0
; NumSGPRsForWavesPerEU: 13
; NumVGPRsForWavesPerEU: 5
; NamedBarCnt: 0
; Occupancy: 16
; WaveLimiterHint : 0
; COMPUTE_PGM_RSRC2:SCRATCH_EN: 0
; COMPUTE_PGM_RSRC2:USER_SGPR: 2
; COMPUTE_PGM_RSRC2:TRAP_HANDLER: 0
; COMPUTE_PGM_RSRC2:TGID_X_EN: 1
; COMPUTE_PGM_RSRC2:TGID_Y_EN: 1
; COMPUTE_PGM_RSRC2:TGID_Z_EN: 1
; COMPUTE_PGM_RSRC2:TIDIG_COMP_CNT: 1
	.section	.text._ZN9rocsolver6v33100L8copy_matI19rocblas_complex_numIdEdLb1EPS3_TnNSt9enable_ifIX18rocblas_is_complexIT_EEiE4typeELi0EEEvNS0_17copymat_directionEiiT2_iilPT0_13rocblas_fill_17rocblas_diagonal_,"axG",@progbits,_ZN9rocsolver6v33100L8copy_matI19rocblas_complex_numIdEdLb1EPS3_TnNSt9enable_ifIX18rocblas_is_complexIT_EEiE4typeELi0EEEvNS0_17copymat_directionEiiT2_iilPT0_13rocblas_fill_17rocblas_diagonal_,comdat
	.globl	_ZN9rocsolver6v33100L8copy_matI19rocblas_complex_numIdEdLb1EPS3_TnNSt9enable_ifIX18rocblas_is_complexIT_EEiE4typeELi0EEEvNS0_17copymat_directionEiiT2_iilPT0_13rocblas_fill_17rocblas_diagonal_ ; -- Begin function _ZN9rocsolver6v33100L8copy_matI19rocblas_complex_numIdEdLb1EPS3_TnNSt9enable_ifIX18rocblas_is_complexIT_EEiE4typeELi0EEEvNS0_17copymat_directionEiiT2_iilPT0_13rocblas_fill_17rocblas_diagonal_
	.p2align	8
	.type	_ZN9rocsolver6v33100L8copy_matI19rocblas_complex_numIdEdLb1EPS3_TnNSt9enable_ifIX18rocblas_is_complexIT_EEiE4typeELi0EEEvNS0_17copymat_directionEiiT2_iilPT0_13rocblas_fill_17rocblas_diagonal_,@function
_ZN9rocsolver6v33100L8copy_matI19rocblas_complex_numIdEdLb1EPS3_TnNSt9enable_ifIX18rocblas_is_complexIT_EEiE4typeELi0EEEvNS0_17copymat_directionEiiT2_iilPT0_13rocblas_fill_17rocblas_diagonal_: ; @_ZN9rocsolver6v33100L8copy_matI19rocblas_complex_numIdEdLb1EPS3_TnNSt9enable_ifIX18rocblas_is_complexIT_EEiE4typeELi0EEEvNS0_17copymat_directionEiiT2_iilPT0_13rocblas_fill_17rocblas_diagonal_
; %bb.0:
	s_clause 0x1
	s_load_b32 s2, s[0:1], 0x44
	s_load_b96 s[12:14], s[0:1], 0x0
	s_bfe_u32 s5, ttmp6, 0x4000c
	s_bfe_u32 s7, ttmp6, 0x40010
	s_and_b32 s6, ttmp7, 0xffff
	s_add_co_i32 s5, s5, 1
	s_add_co_i32 s7, s7, 1
	s_and_b32 s4, ttmp6, 15
	s_bfe_u32 s8, ttmp6, 0x40004
	s_mul_i32 s5, ttmp9, s5
	s_mul_i32 s7, s6, s7
	s_getreg_b32 s3, hwreg(HW_REG_IB_STS2, 6, 4)
	v_bfe_u32 v1, v0, 10, 10
	v_and_b32_e32 v0, 0x3ff, v0
	s_add_co_i32 s4, s4, s5
	s_add_co_i32 s8, s8, s7
	s_wait_kmcnt 0x0
	s_lshr_b32 s5, s2, 16
	s_and_b32 s2, s2, 0xffff
	s_cmp_eq_u32 s3, 0
	s_cselect_b32 s4, ttmp9, s4
	s_cselect_b32 s6, s6, s8
	v_mad_u32 v0, s4, s2, v0
	v_mad_u32 v1, s6, s5, v1
	s_delay_alu instid0(VALU_DEP_2) | instskip(NEXT) | instid1(VALU_DEP_2)
	v_cmp_gt_u32_e32 vcc_lo, s13, v0
	v_cmp_gt_u32_e64 s2, s14, v1
	s_and_b32 s2, s2, vcc_lo
	s_delay_alu instid0(SALU_CYCLE_1)
	s_and_saveexec_b32 s4, s2
	s_cbranch_execz .LBB36_16
; %bb.1:
	s_load_b64 s[4:5], s[0:1], 0x30
	s_wait_kmcnt 0x0
	s_cmp_lt_i32 s4, 0x7a
	s_cbranch_scc1 .LBB36_4
; %bb.2:
	s_cmp_gt_i32 s4, 0x7a
	s_cbranch_scc0 .LBB36_5
; %bb.3:
	s_cmp_lg_u32 s4, 0x7b
	s_mov_b32 s6, -1
	s_cselect_b32 s7, -1, 0
	s_cbranch_execz .LBB36_6
	s_branch .LBB36_7
.LBB36_4:
	s_mov_b32 s7, 0
	s_mov_b32 s6, 0
	s_cbranch_execnz .LBB36_8
	s_branch .LBB36_10
.LBB36_5:
	s_mov_b32 s6, 0
	s_mov_b32 s7, 0
.LBB36_6:
	v_cmp_gt_u32_e32 vcc_lo, v0, v1
	v_cmp_le_u32_e64 s2, v0, v1
	s_and_not1_b32 s6, s6, exec_lo
	s_and_not1_b32 s7, s7, exec_lo
	s_and_b32 s8, vcc_lo, exec_lo
	s_and_b32 s2, s2, exec_lo
	s_or_b32 s6, s6, s8
	s_or_b32 s7, s7, s2
.LBB36_7:
	s_branch .LBB36_10
.LBB36_8:
	s_cmp_eq_u32 s4, 0x79
	s_mov_b32 s7, -1
	s_cbranch_scc0 .LBB36_10
; %bb.9:
	v_cmp_gt_u32_e32 vcc_lo, v1, v0
	v_cmp_le_u32_e64 s2, v1, v0
	s_and_not1_b32 s4, s6, exec_lo
	s_and_b32 s6, vcc_lo, exec_lo
	s_or_not1_b32 s7, s2, exec_lo
	s_or_b32 s6, s4, s6
.LBB36_10:
	s_and_saveexec_b32 s2, s7
; %bb.11:
	v_cmp_eq_u32_e32 vcc_lo, v0, v1
	s_cmp_eq_u32 s5, 0x83
	s_cselect_b32 s4, -1, 0
	s_and_not1_b32 s5, s6, exec_lo
	s_and_b32 s4, s4, vcc_lo
	s_delay_alu instid0(SALU_CYCLE_1) | instskip(NEXT) | instid1(SALU_CYCLE_1)
	s_and_b32 s4, s4, exec_lo
	s_or_b32 s6, s5, s4
; %bb.12:
	s_or_b32 exec_lo, exec_lo, s2
	s_delay_alu instid0(SALU_CYCLE_1)
	s_and_b32 exec_lo, exec_lo, s6
	s_cbranch_execz .LBB36_16
; %bb.13:
	s_load_b256 s[4:11], s[0:1], 0x10
	s_wait_xcnt 0x0
	s_bfe_u32 s0, ttmp6, 0x40014
	s_lshr_b32 s2, ttmp7, 16
	s_add_co_i32 s0, s0, 1
	s_ashr_i32 s17, s13, 31
	s_mov_b32 s16, s13
	s_bfe_u32 s13, ttmp6, 0x40008
	s_mul_i32 s0, s2, s0
	s_ashr_i32 s15, s14, 31
	s_add_co_i32 s13, s13, s0
	v_mad_u32 v2, v1, s16, v0
	s_mov_b32 s1, 0
	s_wait_kmcnt 0x0
	s_ashr_i32 s19, s6, 31
	s_cmp_eq_u32 s3, 0
	v_mad_u32 v0, v1, s7, v0
	s_cselect_b32 s0, s2, s13
	s_mov_b32 s18, s6
	s_mul_u64 s[6:7], s[8:9], s[0:1]
	s_mul_u64 s[8:9], s[16:17], s[0:1]
	s_lshl_b64 s[6:7], s[6:7], 4
	s_mul_u64 s[8:9], s[8:9], s[14:15]
	s_lshl_b64 s[2:3], s[18:19], 4
	s_add_nc_u64 s[4:5], s[4:5], s[6:7]
	s_lshl_b64 s[6:7], s[8:9], 3
	s_cmp_lg_u32 s12, 0
	s_add_nc_u64 s[4:5], s[4:5], s[2:3]
	s_add_nc_u64 s[2:3], s[10:11], s[6:7]
	s_cbranch_scc0 .LBB36_17
; %bb.14:
	global_load_b64 v[4:5], v2, s[2:3] scale_offset
	v_mov_b32_e32 v1, 0
	s_delay_alu instid0(VALU_DEP_1)
	v_lshl_add_u64 v[6:7], v[0:1], 4, s[4:5]
	s_wait_loadcnt 0x0
	global_store_b64 v[6:7], v[4:5], off
	s_and_not1_b32 vcc_lo, exec_lo, s1
	s_cbranch_vccnz .LBB36_16
.LBB36_15:
	v_mov_b32_e32 v1, 0
	s_delay_alu instid0(VALU_DEP_1)
	v_lshl_add_u64 v[0:1], v[0:1], 4, s[4:5]
	global_load_b64 v[0:1], v[0:1], off
	s_wait_loadcnt 0x0
	global_store_b64 v2, v[0:1], s[2:3] scale_offset
.LBB36_16:
	s_endpgm
.LBB36_17:
	s_branch .LBB36_15
	.section	.rodata,"a",@progbits
	.p2align	6, 0x0
	.amdhsa_kernel _ZN9rocsolver6v33100L8copy_matI19rocblas_complex_numIdEdLb1EPS3_TnNSt9enable_ifIX18rocblas_is_complexIT_EEiE4typeELi0EEEvNS0_17copymat_directionEiiT2_iilPT0_13rocblas_fill_17rocblas_diagonal_
		.amdhsa_group_segment_fixed_size 0
		.amdhsa_private_segment_fixed_size 0
		.amdhsa_kernarg_size 312
		.amdhsa_user_sgpr_count 2
		.amdhsa_user_sgpr_dispatch_ptr 0
		.amdhsa_user_sgpr_queue_ptr 0
		.amdhsa_user_sgpr_kernarg_segment_ptr 1
		.amdhsa_user_sgpr_dispatch_id 0
		.amdhsa_user_sgpr_kernarg_preload_length 0
		.amdhsa_user_sgpr_kernarg_preload_offset 0
		.amdhsa_user_sgpr_private_segment_size 0
		.amdhsa_wavefront_size32 1
		.amdhsa_uses_dynamic_stack 0
		.amdhsa_enable_private_segment 0
		.amdhsa_system_sgpr_workgroup_id_x 1
		.amdhsa_system_sgpr_workgroup_id_y 1
		.amdhsa_system_sgpr_workgroup_id_z 1
		.amdhsa_system_sgpr_workgroup_info 0
		.amdhsa_system_vgpr_workitem_id 1
		.amdhsa_next_free_vgpr 8
		.amdhsa_next_free_sgpr 20
		.amdhsa_named_barrier_count 0
		.amdhsa_reserve_vcc 1
		.amdhsa_float_round_mode_32 0
		.amdhsa_float_round_mode_16_64 0
		.amdhsa_float_denorm_mode_32 3
		.amdhsa_float_denorm_mode_16_64 3
		.amdhsa_fp16_overflow 0
		.amdhsa_memory_ordered 1
		.amdhsa_forward_progress 1
		.amdhsa_inst_pref_size 6
		.amdhsa_round_robin_scheduling 0
		.amdhsa_exception_fp_ieee_invalid_op 0
		.amdhsa_exception_fp_denorm_src 0
		.amdhsa_exception_fp_ieee_div_zero 0
		.amdhsa_exception_fp_ieee_overflow 0
		.amdhsa_exception_fp_ieee_underflow 0
		.amdhsa_exception_fp_ieee_inexact 0
		.amdhsa_exception_int_div_zero 0
	.end_amdhsa_kernel
	.section	.text._ZN9rocsolver6v33100L8copy_matI19rocblas_complex_numIdEdLb1EPS3_TnNSt9enable_ifIX18rocblas_is_complexIT_EEiE4typeELi0EEEvNS0_17copymat_directionEiiT2_iilPT0_13rocblas_fill_17rocblas_diagonal_,"axG",@progbits,_ZN9rocsolver6v33100L8copy_matI19rocblas_complex_numIdEdLb1EPS3_TnNSt9enable_ifIX18rocblas_is_complexIT_EEiE4typeELi0EEEvNS0_17copymat_directionEiiT2_iilPT0_13rocblas_fill_17rocblas_diagonal_,comdat
.Lfunc_end36:
	.size	_ZN9rocsolver6v33100L8copy_matI19rocblas_complex_numIdEdLb1EPS3_TnNSt9enable_ifIX18rocblas_is_complexIT_EEiE4typeELi0EEEvNS0_17copymat_directionEiiT2_iilPT0_13rocblas_fill_17rocblas_diagonal_, .Lfunc_end36-_ZN9rocsolver6v33100L8copy_matI19rocblas_complex_numIdEdLb1EPS3_TnNSt9enable_ifIX18rocblas_is_complexIT_EEiE4typeELi0EEEvNS0_17copymat_directionEiiT2_iilPT0_13rocblas_fill_17rocblas_diagonal_
                                        ; -- End function
	.set _ZN9rocsolver6v33100L8copy_matI19rocblas_complex_numIdEdLb1EPS3_TnNSt9enable_ifIX18rocblas_is_complexIT_EEiE4typeELi0EEEvNS0_17copymat_directionEiiT2_iilPT0_13rocblas_fill_17rocblas_diagonal_.num_vgpr, 8
	.set _ZN9rocsolver6v33100L8copy_matI19rocblas_complex_numIdEdLb1EPS3_TnNSt9enable_ifIX18rocblas_is_complexIT_EEiE4typeELi0EEEvNS0_17copymat_directionEiiT2_iilPT0_13rocblas_fill_17rocblas_diagonal_.num_agpr, 0
	.set _ZN9rocsolver6v33100L8copy_matI19rocblas_complex_numIdEdLb1EPS3_TnNSt9enable_ifIX18rocblas_is_complexIT_EEiE4typeELi0EEEvNS0_17copymat_directionEiiT2_iilPT0_13rocblas_fill_17rocblas_diagonal_.numbered_sgpr, 20
	.set _ZN9rocsolver6v33100L8copy_matI19rocblas_complex_numIdEdLb1EPS3_TnNSt9enable_ifIX18rocblas_is_complexIT_EEiE4typeELi0EEEvNS0_17copymat_directionEiiT2_iilPT0_13rocblas_fill_17rocblas_diagonal_.num_named_barrier, 0
	.set _ZN9rocsolver6v33100L8copy_matI19rocblas_complex_numIdEdLb1EPS3_TnNSt9enable_ifIX18rocblas_is_complexIT_EEiE4typeELi0EEEvNS0_17copymat_directionEiiT2_iilPT0_13rocblas_fill_17rocblas_diagonal_.private_seg_size, 0
	.set _ZN9rocsolver6v33100L8copy_matI19rocblas_complex_numIdEdLb1EPS3_TnNSt9enable_ifIX18rocblas_is_complexIT_EEiE4typeELi0EEEvNS0_17copymat_directionEiiT2_iilPT0_13rocblas_fill_17rocblas_diagonal_.uses_vcc, 1
	.set _ZN9rocsolver6v33100L8copy_matI19rocblas_complex_numIdEdLb1EPS3_TnNSt9enable_ifIX18rocblas_is_complexIT_EEiE4typeELi0EEEvNS0_17copymat_directionEiiT2_iilPT0_13rocblas_fill_17rocblas_diagonal_.uses_flat_scratch, 0
	.set _ZN9rocsolver6v33100L8copy_matI19rocblas_complex_numIdEdLb1EPS3_TnNSt9enable_ifIX18rocblas_is_complexIT_EEiE4typeELi0EEEvNS0_17copymat_directionEiiT2_iilPT0_13rocblas_fill_17rocblas_diagonal_.has_dyn_sized_stack, 0
	.set _ZN9rocsolver6v33100L8copy_matI19rocblas_complex_numIdEdLb1EPS3_TnNSt9enable_ifIX18rocblas_is_complexIT_EEiE4typeELi0EEEvNS0_17copymat_directionEiiT2_iilPT0_13rocblas_fill_17rocblas_diagonal_.has_recursion, 0
	.set _ZN9rocsolver6v33100L8copy_matI19rocblas_complex_numIdEdLb1EPS3_TnNSt9enable_ifIX18rocblas_is_complexIT_EEiE4typeELi0EEEvNS0_17copymat_directionEiiT2_iilPT0_13rocblas_fill_17rocblas_diagonal_.has_indirect_call, 0
	.section	.AMDGPU.csdata,"",@progbits
; Kernel info:
; codeLenInByte = 644
; TotalNumSgprs: 22
; NumVgprs: 8
; ScratchSize: 0
; MemoryBound: 0
; FloatMode: 240
; IeeeMode: 1
; LDSByteSize: 0 bytes/workgroup (compile time only)
; SGPRBlocks: 0
; VGPRBlocks: 0
; NumSGPRsForWavesPerEU: 22
; NumVGPRsForWavesPerEU: 8
; NamedBarCnt: 0
; Occupancy: 16
; WaveLimiterHint : 0
; COMPUTE_PGM_RSRC2:SCRATCH_EN: 0
; COMPUTE_PGM_RSRC2:USER_SGPR: 2
; COMPUTE_PGM_RSRC2:TRAP_HANDLER: 0
; COMPUTE_PGM_RSRC2:TGID_X_EN: 1
; COMPUTE_PGM_RSRC2:TGID_Y_EN: 1
; COMPUTE_PGM_RSRC2:TGID_Z_EN: 1
; COMPUTE_PGM_RSRC2:TIDIG_COMP_CNT: 1
	.section	.text._ZN9rocsolver6v33100L8copy_matI19rocblas_complex_numIdEdLb0EPS3_TnNSt9enable_ifIX18rocblas_is_complexIT_EEiE4typeELi0EEEvNS0_17copymat_directionEiiT2_iilPT0_13rocblas_fill_17rocblas_diagonal_,"axG",@progbits,_ZN9rocsolver6v33100L8copy_matI19rocblas_complex_numIdEdLb0EPS3_TnNSt9enable_ifIX18rocblas_is_complexIT_EEiE4typeELi0EEEvNS0_17copymat_directionEiiT2_iilPT0_13rocblas_fill_17rocblas_diagonal_,comdat
	.globl	_ZN9rocsolver6v33100L8copy_matI19rocblas_complex_numIdEdLb0EPS3_TnNSt9enable_ifIX18rocblas_is_complexIT_EEiE4typeELi0EEEvNS0_17copymat_directionEiiT2_iilPT0_13rocblas_fill_17rocblas_diagonal_ ; -- Begin function _ZN9rocsolver6v33100L8copy_matI19rocblas_complex_numIdEdLb0EPS3_TnNSt9enable_ifIX18rocblas_is_complexIT_EEiE4typeELi0EEEvNS0_17copymat_directionEiiT2_iilPT0_13rocblas_fill_17rocblas_diagonal_
	.p2align	8
	.type	_ZN9rocsolver6v33100L8copy_matI19rocblas_complex_numIdEdLb0EPS3_TnNSt9enable_ifIX18rocblas_is_complexIT_EEiE4typeELi0EEEvNS0_17copymat_directionEiiT2_iilPT0_13rocblas_fill_17rocblas_diagonal_,@function
_ZN9rocsolver6v33100L8copy_matI19rocblas_complex_numIdEdLb0EPS3_TnNSt9enable_ifIX18rocblas_is_complexIT_EEiE4typeELi0EEEvNS0_17copymat_directionEiiT2_iilPT0_13rocblas_fill_17rocblas_diagonal_: ; @_ZN9rocsolver6v33100L8copy_matI19rocblas_complex_numIdEdLb0EPS3_TnNSt9enable_ifIX18rocblas_is_complexIT_EEiE4typeELi0EEEvNS0_17copymat_directionEiiT2_iilPT0_13rocblas_fill_17rocblas_diagonal_
; %bb.0:
	s_clause 0x1
	s_load_b32 s2, s[0:1], 0x44
	s_load_b96 s[12:14], s[0:1], 0x0
	s_bfe_u32 s5, ttmp6, 0x4000c
	s_bfe_u32 s7, ttmp6, 0x40010
	s_and_b32 s6, ttmp7, 0xffff
	s_add_co_i32 s5, s5, 1
	s_add_co_i32 s7, s7, 1
	s_and_b32 s4, ttmp6, 15
	s_bfe_u32 s8, ttmp6, 0x40004
	s_mul_i32 s5, ttmp9, s5
	s_mul_i32 s7, s6, s7
	s_getreg_b32 s3, hwreg(HW_REG_IB_STS2, 6, 4)
	v_bfe_u32 v1, v0, 10, 10
	v_and_b32_e32 v0, 0x3ff, v0
	s_add_co_i32 s4, s4, s5
	s_add_co_i32 s8, s8, s7
	s_wait_kmcnt 0x0
	s_lshr_b32 s5, s2, 16
	s_and_b32 s2, s2, 0xffff
	s_cmp_eq_u32 s3, 0
	s_cselect_b32 s4, ttmp9, s4
	s_cselect_b32 s6, s6, s8
	v_mad_u32 v0, s4, s2, v0
	v_mad_u32 v1, s6, s5, v1
	s_delay_alu instid0(VALU_DEP_2) | instskip(NEXT) | instid1(VALU_DEP_2)
	v_cmp_gt_u32_e32 vcc_lo, s13, v0
	v_cmp_gt_u32_e64 s2, s14, v1
	s_and_b32 s2, s2, vcc_lo
	s_delay_alu instid0(SALU_CYCLE_1)
	s_and_saveexec_b32 s4, s2
	s_cbranch_execz .LBB37_16
; %bb.1:
	s_load_b64 s[4:5], s[0:1], 0x30
	s_wait_kmcnt 0x0
	s_cmp_lt_i32 s4, 0x7a
	s_cbranch_scc1 .LBB37_4
; %bb.2:
	s_cmp_gt_i32 s4, 0x7a
	s_cbranch_scc0 .LBB37_5
; %bb.3:
	s_cmp_lg_u32 s4, 0x7b
	s_mov_b32 s6, -1
	s_cselect_b32 s7, -1, 0
	s_cbranch_execz .LBB37_6
	s_branch .LBB37_7
.LBB37_4:
	s_mov_b32 s7, 0
	s_mov_b32 s6, 0
	s_cbranch_execnz .LBB37_8
	s_branch .LBB37_10
.LBB37_5:
	s_mov_b32 s6, 0
	s_mov_b32 s7, 0
.LBB37_6:
	v_cmp_gt_u32_e32 vcc_lo, v0, v1
	v_cmp_le_u32_e64 s2, v0, v1
	s_and_not1_b32 s6, s6, exec_lo
	s_and_not1_b32 s7, s7, exec_lo
	s_and_b32 s8, vcc_lo, exec_lo
	s_and_b32 s2, s2, exec_lo
	s_or_b32 s6, s6, s8
	s_or_b32 s7, s7, s2
.LBB37_7:
	s_branch .LBB37_10
.LBB37_8:
	s_cmp_eq_u32 s4, 0x79
	s_mov_b32 s7, -1
	s_cbranch_scc0 .LBB37_10
; %bb.9:
	v_cmp_gt_u32_e32 vcc_lo, v1, v0
	v_cmp_le_u32_e64 s2, v1, v0
	s_and_not1_b32 s4, s6, exec_lo
	s_and_b32 s6, vcc_lo, exec_lo
	s_or_not1_b32 s7, s2, exec_lo
	s_or_b32 s6, s4, s6
.LBB37_10:
	s_and_saveexec_b32 s2, s7
; %bb.11:
	v_cmp_eq_u32_e32 vcc_lo, v0, v1
	s_cmp_eq_u32 s5, 0x83
	s_cselect_b32 s4, -1, 0
	s_and_not1_b32 s5, s6, exec_lo
	s_and_b32 s4, s4, vcc_lo
	s_delay_alu instid0(SALU_CYCLE_1) | instskip(NEXT) | instid1(SALU_CYCLE_1)
	s_and_b32 s4, s4, exec_lo
	s_or_b32 s6, s5, s4
; %bb.12:
	s_or_b32 exec_lo, exec_lo, s2
	s_delay_alu instid0(SALU_CYCLE_1)
	s_and_b32 exec_lo, exec_lo, s6
	s_cbranch_execz .LBB37_16
; %bb.13:
	s_load_b256 s[4:11], s[0:1], 0x10
	s_wait_xcnt 0x0
	s_bfe_u32 s0, ttmp6, 0x40014
	s_lshr_b32 s2, ttmp7, 16
	s_add_co_i32 s0, s0, 1
	s_ashr_i32 s17, s13, 31
	s_mov_b32 s16, s13
	s_bfe_u32 s13, ttmp6, 0x40008
	s_mul_i32 s0, s2, s0
	s_ashr_i32 s15, s14, 31
	s_add_co_i32 s13, s13, s0
	s_mov_b32 s1, 0
	v_mad_u32 v2, v1, s16, v0
	v_mov_b32_e32 v5, 0
	s_wait_kmcnt 0x0
	s_ashr_i32 s19, s6, 31
	s_cmp_eq_u32 s3, 0
	v_mad_u32 v4, v1, s7, v0
	s_cselect_b32 s0, s2, s13
	s_mov_b32 s18, s6
	s_mul_u64 s[2:3], s[8:9], s[0:1]
	s_mul_u64 s[6:7], s[16:17], s[0:1]
	s_lshl_b64 s[2:3], s[2:3], 4
	s_delay_alu instid0(SALU_CYCLE_1) | instskip(SKIP_1) | instid1(SALU_CYCLE_1)
	s_add_nc_u64 s[2:3], s[4:5], s[2:3]
	s_lshl_b64 s[4:5], s[18:19], 4
	s_add_nc_u64 s[2:3], s[2:3], s[4:5]
	s_mul_u64 s[4:5], s[6:7], s[14:15]
	s_delay_alu instid0(VALU_DEP_1)
	v_lshl_add_u64 v[0:1], v[4:5], 4, s[2:3]
	s_lshl_b64 s[2:3], s[4:5], 3
	s_cmp_lg_u32 s12, 0
	s_add_nc_u64 s[2:3], s[10:11], s[2:3]
	s_cbranch_scc0 .LBB37_17
; %bb.14:
	global_load_b64 v[4:5], v2, s[2:3] scale_offset
	s_wait_loadcnt 0x0
	global_store_b64 v[0:1], v[4:5], off offset:8
	s_and_not1_b32 vcc_lo, exec_lo, s1
	s_cbranch_vccnz .LBB37_16
.LBB37_15:
	global_load_b64 v[0:1], v[0:1], off offset:8
	s_wait_loadcnt 0x0
	global_store_b64 v2, v[0:1], s[2:3] scale_offset
.LBB37_16:
	s_endpgm
.LBB37_17:
	s_branch .LBB37_15
	.section	.rodata,"a",@progbits
	.p2align	6, 0x0
	.amdhsa_kernel _ZN9rocsolver6v33100L8copy_matI19rocblas_complex_numIdEdLb0EPS3_TnNSt9enable_ifIX18rocblas_is_complexIT_EEiE4typeELi0EEEvNS0_17copymat_directionEiiT2_iilPT0_13rocblas_fill_17rocblas_diagonal_
		.amdhsa_group_segment_fixed_size 0
		.amdhsa_private_segment_fixed_size 0
		.amdhsa_kernarg_size 312
		.amdhsa_user_sgpr_count 2
		.amdhsa_user_sgpr_dispatch_ptr 0
		.amdhsa_user_sgpr_queue_ptr 0
		.amdhsa_user_sgpr_kernarg_segment_ptr 1
		.amdhsa_user_sgpr_dispatch_id 0
		.amdhsa_user_sgpr_kernarg_preload_length 0
		.amdhsa_user_sgpr_kernarg_preload_offset 0
		.amdhsa_user_sgpr_private_segment_size 0
		.amdhsa_wavefront_size32 1
		.amdhsa_uses_dynamic_stack 0
		.amdhsa_enable_private_segment 0
		.amdhsa_system_sgpr_workgroup_id_x 1
		.amdhsa_system_sgpr_workgroup_id_y 1
		.amdhsa_system_sgpr_workgroup_id_z 1
		.amdhsa_system_sgpr_workgroup_info 0
		.amdhsa_system_vgpr_workitem_id 1
		.amdhsa_next_free_vgpr 6
		.amdhsa_next_free_sgpr 20
		.amdhsa_named_barrier_count 0
		.amdhsa_reserve_vcc 1
		.amdhsa_float_round_mode_32 0
		.amdhsa_float_round_mode_16_64 0
		.amdhsa_float_denorm_mode_32 3
		.amdhsa_float_denorm_mode_16_64 3
		.amdhsa_fp16_overflow 0
		.amdhsa_memory_ordered 1
		.amdhsa_forward_progress 1
		.amdhsa_inst_pref_size 5
		.amdhsa_round_robin_scheduling 0
		.amdhsa_exception_fp_ieee_invalid_op 0
		.amdhsa_exception_fp_denorm_src 0
		.amdhsa_exception_fp_ieee_div_zero 0
		.amdhsa_exception_fp_ieee_overflow 0
		.amdhsa_exception_fp_ieee_underflow 0
		.amdhsa_exception_fp_ieee_inexact 0
		.amdhsa_exception_int_div_zero 0
	.end_amdhsa_kernel
	.section	.text._ZN9rocsolver6v33100L8copy_matI19rocblas_complex_numIdEdLb0EPS3_TnNSt9enable_ifIX18rocblas_is_complexIT_EEiE4typeELi0EEEvNS0_17copymat_directionEiiT2_iilPT0_13rocblas_fill_17rocblas_diagonal_,"axG",@progbits,_ZN9rocsolver6v33100L8copy_matI19rocblas_complex_numIdEdLb0EPS3_TnNSt9enable_ifIX18rocblas_is_complexIT_EEiE4typeELi0EEEvNS0_17copymat_directionEiiT2_iilPT0_13rocblas_fill_17rocblas_diagonal_,comdat
.Lfunc_end37:
	.size	_ZN9rocsolver6v33100L8copy_matI19rocblas_complex_numIdEdLb0EPS3_TnNSt9enable_ifIX18rocblas_is_complexIT_EEiE4typeELi0EEEvNS0_17copymat_directionEiiT2_iilPT0_13rocblas_fill_17rocblas_diagonal_, .Lfunc_end37-_ZN9rocsolver6v33100L8copy_matI19rocblas_complex_numIdEdLb0EPS3_TnNSt9enable_ifIX18rocblas_is_complexIT_EEiE4typeELi0EEEvNS0_17copymat_directionEiiT2_iilPT0_13rocblas_fill_17rocblas_diagonal_
                                        ; -- End function
	.set _ZN9rocsolver6v33100L8copy_matI19rocblas_complex_numIdEdLb0EPS3_TnNSt9enable_ifIX18rocblas_is_complexIT_EEiE4typeELi0EEEvNS0_17copymat_directionEiiT2_iilPT0_13rocblas_fill_17rocblas_diagonal_.num_vgpr, 6
	.set _ZN9rocsolver6v33100L8copy_matI19rocblas_complex_numIdEdLb0EPS3_TnNSt9enable_ifIX18rocblas_is_complexIT_EEiE4typeELi0EEEvNS0_17copymat_directionEiiT2_iilPT0_13rocblas_fill_17rocblas_diagonal_.num_agpr, 0
	.set _ZN9rocsolver6v33100L8copy_matI19rocblas_complex_numIdEdLb0EPS3_TnNSt9enable_ifIX18rocblas_is_complexIT_EEiE4typeELi0EEEvNS0_17copymat_directionEiiT2_iilPT0_13rocblas_fill_17rocblas_diagonal_.numbered_sgpr, 20
	.set _ZN9rocsolver6v33100L8copy_matI19rocblas_complex_numIdEdLb0EPS3_TnNSt9enable_ifIX18rocblas_is_complexIT_EEiE4typeELi0EEEvNS0_17copymat_directionEiiT2_iilPT0_13rocblas_fill_17rocblas_diagonal_.num_named_barrier, 0
	.set _ZN9rocsolver6v33100L8copy_matI19rocblas_complex_numIdEdLb0EPS3_TnNSt9enable_ifIX18rocblas_is_complexIT_EEiE4typeELi0EEEvNS0_17copymat_directionEiiT2_iilPT0_13rocblas_fill_17rocblas_diagonal_.private_seg_size, 0
	.set _ZN9rocsolver6v33100L8copy_matI19rocblas_complex_numIdEdLb0EPS3_TnNSt9enable_ifIX18rocblas_is_complexIT_EEiE4typeELi0EEEvNS0_17copymat_directionEiiT2_iilPT0_13rocblas_fill_17rocblas_diagonal_.uses_vcc, 1
	.set _ZN9rocsolver6v33100L8copy_matI19rocblas_complex_numIdEdLb0EPS3_TnNSt9enable_ifIX18rocblas_is_complexIT_EEiE4typeELi0EEEvNS0_17copymat_directionEiiT2_iilPT0_13rocblas_fill_17rocblas_diagonal_.uses_flat_scratch, 0
	.set _ZN9rocsolver6v33100L8copy_matI19rocblas_complex_numIdEdLb0EPS3_TnNSt9enable_ifIX18rocblas_is_complexIT_EEiE4typeELi0EEEvNS0_17copymat_directionEiiT2_iilPT0_13rocblas_fill_17rocblas_diagonal_.has_dyn_sized_stack, 0
	.set _ZN9rocsolver6v33100L8copy_matI19rocblas_complex_numIdEdLb0EPS3_TnNSt9enable_ifIX18rocblas_is_complexIT_EEiE4typeELi0EEEvNS0_17copymat_directionEiiT2_iilPT0_13rocblas_fill_17rocblas_diagonal_.has_recursion, 0
	.set _ZN9rocsolver6v33100L8copy_matI19rocblas_complex_numIdEdLb0EPS3_TnNSt9enable_ifIX18rocblas_is_complexIT_EEiE4typeELi0EEEvNS0_17copymat_directionEiiT2_iilPT0_13rocblas_fill_17rocblas_diagonal_.has_indirect_call, 0
	.section	.AMDGPU.csdata,"",@progbits
; Kernel info:
; codeLenInByte = 632
; TotalNumSgprs: 22
; NumVgprs: 6
; ScratchSize: 0
; MemoryBound: 0
; FloatMode: 240
; IeeeMode: 1
; LDSByteSize: 0 bytes/workgroup (compile time only)
; SGPRBlocks: 0
; VGPRBlocks: 0
; NumSGPRsForWavesPerEU: 22
; NumVGPRsForWavesPerEU: 6
; NamedBarCnt: 0
; Occupancy: 16
; WaveLimiterHint : 0
; COMPUTE_PGM_RSRC2:SCRATCH_EN: 0
; COMPUTE_PGM_RSRC2:USER_SGPR: 2
; COMPUTE_PGM_RSRC2:TRAP_HANDLER: 0
; COMPUTE_PGM_RSRC2:TGID_X_EN: 1
; COMPUTE_PGM_RSRC2:TGID_Y_EN: 1
; COMPUTE_PGM_RSRC2:TGID_Z_EN: 1
; COMPUTE_PGM_RSRC2:TIDIG_COMP_CNT: 1
	.section	.text._ZN9rocsolver6v33100L11stedcx_sortI19rocblas_complex_numIdEdPS3_EEviPT0_lT1_iiliPiS8_,"axG",@progbits,_ZN9rocsolver6v33100L11stedcx_sortI19rocblas_complex_numIdEdPS3_EEviPT0_lT1_iiliPiS8_,comdat
	.globl	_ZN9rocsolver6v33100L11stedcx_sortI19rocblas_complex_numIdEdPS3_EEviPT0_lT1_iiliPiS8_ ; -- Begin function _ZN9rocsolver6v33100L11stedcx_sortI19rocblas_complex_numIdEdPS3_EEviPT0_lT1_iiliPiS8_
	.p2align	8
	.type	_ZN9rocsolver6v33100L11stedcx_sortI19rocblas_complex_numIdEdPS3_EEviPT0_lT1_iiliPiS8_,@function
_ZN9rocsolver6v33100L11stedcx_sortI19rocblas_complex_numIdEdPS3_EEviPT0_lT1_iiliPiS8_: ; @_ZN9rocsolver6v33100L11stedcx_sortI19rocblas_complex_numIdEdPS3_EEviPT0_lT1_iiliPiS8_
; %bb.0:
	s_load_b32 s33, s[2:3], 0x30
	s_bfe_u32 s4, ttmp6, 0x40014
	s_lshr_b32 s5, ttmp7, 16
	s_add_co_i32 s4, s4, 1
	s_bfe_u32 s6, ttmp6, 0x40008
	s_mul_i32 s4, s5, s4
	s_getreg_b32 s7, hwreg(HW_REG_IB_STS2, 6, 4)
	s_add_co_i32 s6, s6, s4
	s_cmp_eq_u32 s7, 0
	s_mov_b32 s19, 0
	s_cselect_b32 s16, s5, s6
	s_mov_b32 s32, 0
	s_wait_kmcnt 0x0
	s_cmp_ge_i32 s16, s33
	s_cbranch_scc1 .LBB38_70
; %bb.1:
	s_load_b32 s20, s[2:3], 0x0
	s_load_b64 s[26:27], s[0:1], 0x4
	s_clause 0x2
	s_load_b256 s[4:11], s[2:3], 0x8
	s_load_b64 s[24:25], s[2:3], 0x28
	s_load_b128 s[12:15], s[2:3], 0x38
	v_and_b32_e32 v6, 0x3ff, v0
	v_bfe_u32 v7, v0, 10, 10
	v_bfe_u32 v8, v0, 20, 10
	s_mov_b32 s17, s19
	s_load_b32 s36, s[2:3], 0x50
	s_add_nc_u64 s[22:23], s[2:3], 0x48
	v_mov_b32_e32 v1, 0
	v_or3_b32 v0, v7, v8, v6
	s_mov_b32 s42, 0
                                        ; implicit-def: $sgpr43
                                        ; implicit-def: $sgpr40
                                        ; implicit-def: $sgpr44
                                        ; implicit-def: $sgpr45
	s_wait_xcnt 0x0
	s_delay_alu instid0(VALU_DEP_1)
	v_cmp_eq_u32_e64 s0, 0, v0
	s_wait_kmcnt 0x0
	s_ashr_i32 s21, s20, 31
	v_mul_u32_u24_e32 v0, s27, v7
	s_mul_u64 s[28:29], s[20:21], s[16:17]
	s_lshr_b32 s1, s26, 16
	s_lshl_b64 s[28:29], s[28:29], 2
	s_cmp_lg_u64 s[8:9], 0
	s_mul_i32 s1, s1, s27
	s_mov_b32 s2, s10
	s_cselect_b32 s21, -1, 0
	s_ashr_i32 s3, s10, 31
	v_mad_u32 v0, s1, v6, v0
	s_lshl_b64 s[2:3], s[2:3], 4
	s_cmp_lg_u64 s[14:15], 0
	s_mov_b32 s26, s11
	s_cselect_b32 s37, -1, 0
	s_cmp_eq_u64 s[4:5], 0
	s_add_nc_u64 s[28:29], s[12:13], s[28:29]
	s_cselect_b32 s38, -1, 0
	s_cmp_lg_u64 s[12:13], 0
	s_add_nc_u64 s[8:9], s[8:9], s[2:3]
	s_cselect_b32 s39, -1, 0
	s_min_i32 s1, s20, s11
	v_add_lshl_u32 v9, v0, v8, 4
	s_cmp_gt_i32 s1, 0
	s_mov_b32 s27, s19
	s_cselect_b32 s1, -1, 0
	s_get_pc_i64 s[10:11]
	s_add_nc_u64 s[10:11], s[10:11], __const._ZN9rocsolver6v33100L20shell_sort_ascendingIdiEEvT0_PT_PS2_.gaps@rel64+4
	s_and_b32 s41, s1, s39
	s_branch .LBB38_4
.LBB38_2:                               ;   in Loop: Header=BB38_4 Depth=1
	s_or_b32 exec_lo, exec_lo, s2
	s_delay_alu instid0(SALU_CYCLE_1)
	s_and_not1_b32 s1, s45, exec_lo
	s_and_b32 s2, s12, exec_lo
	s_and_not1_b32 s44, s44, exec_lo
	s_or_b32 s45, s1, s2
	s_or_not1_b32 s47, s17, exec_lo
.LBB38_3:                               ;   in Loop: Header=BB38_4 Depth=1
	s_or_b32 exec_lo, exec_lo, s3
	s_delay_alu instid0(SALU_CYCLE_1) | instskip(NEXT) | instid1(SALU_CYCLE_1)
	s_and_b32 s1, exec_lo, s47
	s_or_b32 s42, s1, s42
	s_and_not1_b32 s1, s40, exec_lo
	s_and_b32 s2, s45, exec_lo
	s_and_not1_b32 s3, s43, exec_lo
	s_and_b32 s12, s44, exec_lo
	s_or_b32 s40, s1, s2
	s_or_b32 s43, s3, s12
	s_and_not1_b32 exec_lo, exec_lo, s42
	s_cbranch_execz .LBB38_66
.LBB38_4:                               ; =>This Loop Header: Depth=1
                                        ;     Child Loop BB38_11 Depth 2
                                        ;     Child Loop BB38_15 Depth 2
                                        ;       Child Loop BB38_18 Depth 3
                                        ;         Child Loop BB38_22 Depth 4
                                        ;     Child Loop BB38_33 Depth 2
                                        ;     Child Loop BB38_47 Depth 2
                                        ;       Child Loop BB38_50 Depth 3
                                        ;         Child Loop BB38_54 Depth 4
                                        ;     Child Loop BB38_58 Depth 2
	s_ashr_i32 s17, s16, 31
	s_and_not1_b32 vcc_lo, exec_lo, s21
	s_mov_b64 s[12:13], 0
	s_cbranch_vccnz .LBB38_6
; %bb.5:                                ;   in Loop: Header=BB38_4 Depth=1
	s_mul_u64 s[2:3], s[24:25], s[16:17]
	s_delay_alu instid0(SALU_CYCLE_1) | instskip(NEXT) | instid1(SALU_CYCLE_1)
	s_lshl_b64 s[2:3], s[2:3], 4
	s_add_nc_u64 s[12:13], s[8:9], s[2:3]
.LBB38_6:                               ;   in Loop: Header=BB38_4 Depth=1
	s_and_not1_b32 vcc_lo, exec_lo, s37
	s_mov_b32 s46, s20
	s_cbranch_vccnz .LBB38_8
; %bb.7:                                ;   in Loop: Header=BB38_4 Depth=1
	s_lshl_b64 s[2:3], s[16:17], 2
	s_delay_alu instid0(SALU_CYCLE_1)
	s_add_nc_u64 s[2:3], s[14:15], s[2:3]
	global_load_b32 v0, v1, s[2:3]
	s_wait_loadcnt 0x0
	v_readfirstlane_b32 s46, v0
.LBB38_8:                               ;   in Loop: Header=BB38_4 Depth=1
	s_delay_alu instid0(VALU_DEP_1) | instskip(SKIP_2) | instid1(SALU_CYCLE_1)
	s_cmp_lt_i32 s46, 1
	s_mov_b32 s47, -1
	s_cselect_b32 s1, -1, 0
	s_or_b32 s1, s38, s1
	s_barrier_signal -1
	s_and_b32 vcc_lo, exec_lo, s1
	s_mov_b32 s1, -1
	s_barrier_wait -1
	s_cbranch_vccnz .LBB38_42
; %bb.9:                                ;   in Loop: Header=BB38_4 Depth=1
	s_load_b64 s[2:3], s[22:23], 0xc
	s_barrier_signal -1
	s_barrier_wait -1
	s_wait_kmcnt 0x0
	s_and_b32 s1, s2, 0xffff
	s_lshr_b32 s2, s2, 16
	v_mad_u32_u24 v0, v7, s1, v6
	s_mul_i32 s48, s2, s1
	s_and_b32 s1, s3, 0xffff
	s_delay_alu instid0(VALU_DEP_1) | instskip(SKIP_1) | instid1(VALU_DEP_1)
	v_mad_u32 v0, s48, v8, v0
	s_mul_i32 s48, s48, s1
	v_cmp_gt_u32_e32 vcc_lo, s46, v0
	s_and_b32 s2, s39, vcc_lo
	s_delay_alu instid0(SALU_CYCLE_1)
	s_and_saveexec_b32 s1, s2
	s_cbranch_execz .LBB38_12
; %bb.10:                               ;   in Loop: Header=BB38_4 Depth=1
	v_mov_b32_e32 v2, v0
	s_mov_b32 s2, 0
.LBB38_11:                              ;   Parent Loop BB38_4 Depth=1
                                        ; =>  This Inner Loop Header: Depth=2
	global_store_b32 v2, v2, s[28:29] scale_offset
	s_wait_xcnt 0x0
	v_add_nc_u32_e32 v2, s48, v2
	s_delay_alu instid0(VALU_DEP_1) | instskip(SKIP_1) | instid1(SALU_CYCLE_1)
	v_cmp_le_u32_e32 vcc_lo, s46, v2
	s_or_b32 s2, vcc_lo, s2
	s_and_not1_b32 exec_lo, exec_lo, s2
	s_cbranch_execnz .LBB38_11
.LBB38_12:                              ;   in Loop: Header=BB38_4 Depth=1
	s_or_b32 exec_lo, exec_lo, s1
	s_mul_u64 s[2:3], s[6:7], s[16:17]
	s_wait_storecnt 0x0
	s_lshl_b64 s[2:3], s[2:3], 3
	s_barrier_signal -1
	s_add_nc_u64 s[2:3], s[4:5], s[2:3]
	s_barrier_wait -1
	s_and_saveexec_b32 s1, s0
	s_cbranch_execz .LBB38_29
; %bb.13:                               ;   in Loop: Header=BB38_4 Depth=1
	s_mov_b32 s17, 0
	s_branch .LBB38_15
.LBB38_14:                              ;   in Loop: Header=BB38_15 Depth=2
	s_wait_xcnt 0x0
	s_add_co_i32 s17, s17, 1
	s_delay_alu instid0(SALU_CYCLE_1)
	s_cmp_eq_u32 s17, 8
	s_cbranch_scc1 .LBB38_29
.LBB38_15:                              ;   Parent Loop BB38_4 Depth=1
                                        ; =>  This Loop Header: Depth=2
                                        ;       Child Loop BB38_18 Depth 3
                                        ;         Child Loop BB38_22 Depth 4
	s_load_b32 s49, s[10:11], s17 offset:0x0 scale_offset
	s_wait_kmcnt 0x0
	s_cmp_ge_i32 s49, s46
	s_cbranch_scc1 .LBB38_14
; %bb.16:                               ;   in Loop: Header=BB38_15 Depth=2
	s_mov_b32 s50, 0
	s_mov_b32 s30, s49
	s_branch .LBB38_18
.LBB38_17:                              ;   in Loop: Header=BB38_18 Depth=3
	s_add_co_i32 s30, s30, 1
	s_add_co_i32 s50, s50, 1
	s_cmp_ge_i32 s30, s46
	s_cbranch_scc1 .LBB38_14
.LBB38_18:                              ;   Parent Loop BB38_4 Depth=1
                                        ;     Parent Loop BB38_15 Depth=2
                                        ; =>    This Loop Header: Depth=3
                                        ;         Child Loop BB38_22 Depth 4
	s_wait_xcnt 0x0
	v_mov_b32_e32 v2, s30
	s_and_not1_b32 vcc_lo, exec_lo, s39
	s_ashr_i32 s31, s30, 31
	global_load_b64 v[2:3], v2, s[2:3] scale_offset
	s_cbranch_vccnz .LBB38_20
; %bb.19:                               ;   in Loop: Header=BB38_18 Depth=3
	s_lshl_b64 s[34:35], s[30:31], 2
	s_delay_alu instid0(SALU_CYCLE_1)
	s_add_nc_u64 s[34:35], s[28:29], s[34:35]
	global_load_b32 v10, v1, s[34:35]
	s_cmp_lt_i32 s30, s49
	s_wait_xcnt 0x0
	s_mov_b64 s[34:35], s[30:31]
	s_mov_b32 s18, s50
	s_cbranch_scc0 .LBB38_22
	s_branch .LBB38_27
.LBB38_20:                              ;   in Loop: Header=BB38_18 Depth=3
	v_mov_b32_e32 v10, 0
	s_cmp_lt_i32 s30, s49
	s_mov_b64 s[34:35], s[30:31]
	s_mov_b32 s18, s50
	s_cbranch_scc0 .LBB38_22
	s_branch .LBB38_27
.LBB38_21:                              ;   in Loop: Header=BB38_22 Depth=4
                                        ; implicit-def: $sgpr31
	s_and_b32 vcc_lo, exec_lo, s35
	s_mov_b32 s18, s31
	s_cbranch_vccnz .LBB38_26
.LBB38_22:                              ;   Parent Loop BB38_4 Depth=1
                                        ;     Parent Loop BB38_15 Depth=2
                                        ;       Parent Loop BB38_18 Depth=3
                                        ; =>      This Inner Loop Header: Depth=4
	s_wait_xcnt 0x0
	v_mov_b32_e32 v4, s18
	s_add_co_i32 s34, s49, s18
	s_mov_b32 s35, -1
	global_load_b64 v[4:5], v4, s[2:3] scale_offset
	s_wait_loadcnt 0x0
	v_cmp_ngt_f64_e32 vcc_lo, v[4:5], v[2:3]
	s_cbranch_vccnz .LBB38_21
; %bb.23:                               ;   in Loop: Header=BB38_22 Depth=4
	v_mov_b32_e32 v11, s34
	s_and_not1_b32 vcc_lo, exec_lo, s39
	global_store_b64 v11, v[4:5], s[2:3] scale_offset
	s_cbranch_vccnz .LBB38_25
; %bb.24:                               ;   in Loop: Header=BB38_22 Depth=4
	s_lshl_b64 s[52:53], s[18:19], 2
	s_ashr_i32 s35, s34, 31
	s_add_nc_u64 s[52:53], s[28:29], s[52:53]
	s_lshl_b64 s[34:35], s[34:35], 2
	global_load_b32 v4, v1, s[52:53]
	s_add_nc_u64 s[34:35], s[28:29], s[34:35]
	s_wait_loadcnt 0x0
	global_store_b32 v1, v4, s[34:35]
.LBB38_25:                              ;   in Loop: Header=BB38_22 Depth=4
	s_sub_co_i32 s31, s18, s49
	s_cmp_lt_i32 s18, s49
	s_wait_xcnt 0x0
	s_mov_b32 s34, s18
	s_cselect_b32 s35, -1, 0
	s_delay_alu instid0(SALU_CYCLE_1)
	s_and_b32 vcc_lo, exec_lo, s35
	s_mov_b32 s18, s31
	s_cbranch_vccz .LBB38_22
.LBB38_26:                              ;   in Loop: Header=BB38_18 Depth=3
	s_ashr_i32 s35, s34, 31
.LBB38_27:                              ;   in Loop: Header=BB38_18 Depth=3
	s_delay_alu instid0(SALU_CYCLE_1)
	s_lshl_b64 s[52:53], s[34:35], 3
	s_and_not1_b32 vcc_lo, exec_lo, s39
	s_add_nc_u64 s[52:53], s[2:3], s[52:53]
	s_wait_loadcnt 0x0
	global_store_b64 v1, v[2:3], s[52:53]
	s_cbranch_vccnz .LBB38_17
; %bb.28:                               ;   in Loop: Header=BB38_18 Depth=3
	s_lshl_b64 s[34:35], s[34:35], 2
	s_delay_alu instid0(SALU_CYCLE_1)
	s_add_nc_u64 s[34:35], s[28:29], s[34:35]
	global_store_b32 v1, v10, s[34:35]
	s_branch .LBB38_17
.LBB38_29:                              ;   in Loop: Header=BB38_4 Depth=1
	s_wait_xcnt 0x0
	s_or_b32 exec_lo, exec_lo, s1
	s_cmp_lt_u32 s46, 2
	s_wait_storecnt 0x0
	s_cselect_b32 s30, -1, 0
	s_barrier_signal -1
	s_and_b32 vcc_lo, exec_lo, s30
	s_barrier_wait -1
	s_cbranch_vccnz .LBB38_39
; %bb.30:                               ;   in Loop: Header=BB38_4 Depth=1
	s_add_co_i32 s18, s46, -1
	s_mov_b32 s30, -1
	s_mov_b32 s17, exec_lo
	v_cmpx_gt_u32_e64 s18, v0
	s_cbranch_execz .LBB38_38
; %bb.31:                               ;   in Loop: Header=BB38_4 Depth=1
	s_mov_b32 s30, 0
                                        ; implicit-def: $sgpr31
	s_branch .LBB38_33
.LBB38_32:                              ;   in Loop: Header=BB38_33 Depth=2
	s_or_b32 exec_lo, exec_lo, s49
	s_xor_b32 s34, s35, -1
	s_and_b32 s1, exec_lo, s1
	s_delay_alu instid0(SALU_CYCLE_1) | instskip(SKIP_2) | instid1(SALU_CYCLE_1)
	s_or_b32 s30, s1, s30
	s_and_not1_b32 s1, s31, exec_lo
	s_and_b32 s31, s34, exec_lo
	s_or_b32 s31, s1, s31
	s_and_not1_b32 exec_lo, exec_lo, s30
	s_cbranch_execz .LBB38_37
.LBB38_33:                              ;   Parent Loop BB38_4 Depth=1
                                        ; =>  This Inner Loop Header: Depth=2
	global_load_b64 v[2:3], v0, s[2:3] scale_offset
	s_mov_b32 s35, exec_lo
	s_wait_loadcnt 0x0
	v_cmp_u_f64_e64 s34, v[2:3], v[2:3]
	v_cmpx_o_f64_e32 v[2:3], v[2:3]
	s_cbranch_execz .LBB38_35
; %bb.34:                               ;   in Loop: Header=BB38_33 Depth=2
	v_lshl_add_u64 v[4:5], v[0:1], 3, s[2:3]
	s_and_not1_b32 s34, s34, exec_lo
	global_load_b64 v[4:5], v[4:5], off offset:8
	s_wait_loadcnt 0x0
	v_cmp_u_f64_e32 vcc_lo, v[4:5], v[4:5]
	v_cmp_le_f64_e64 s1, v[2:3], v[4:5]
	s_or_b32 s1, vcc_lo, s1
	s_delay_alu instid0(SALU_CYCLE_1) | instskip(NEXT) | instid1(SALU_CYCLE_1)
	s_and_b32 s1, s1, exec_lo
	s_or_b32 s34, s34, s1
.LBB38_35:                              ;   in Loop: Header=BB38_33 Depth=2
	s_or_b32 exec_lo, exec_lo, s35
	s_mov_b32 s1, -1
	s_mov_b32 s35, -1
	s_and_saveexec_b32 s49, s34
	s_cbranch_execz .LBB38_32
; %bb.36:                               ;   in Loop: Header=BB38_33 Depth=2
	v_add_nc_u32_e32 v0, s48, v0
	s_xor_b32 s35, exec_lo, -1
	s_delay_alu instid0(VALU_DEP_1)
	v_cmp_le_u32_e32 vcc_lo, s18, v0
	s_or_not1_b32 s1, vcc_lo, exec_lo
	s_branch .LBB38_32
.LBB38_37:                              ;   in Loop: Header=BB38_4 Depth=1
	s_or_b32 exec_lo, exec_lo, s30
	s_delay_alu instid0(SALU_CYCLE_1)
	s_or_not1_b32 s30, s31, exec_lo
.LBB38_38:                              ;   in Loop: Header=BB38_4 Depth=1
	s_or_b32 exec_lo, exec_lo, s17
.LBB38_39:                              ;   in Loop: Header=BB38_4 Depth=1
	s_mov_b32 s1, 0
	s_and_saveexec_b32 s2, s30
	s_cbranch_execz .LBB38_41
; %bb.40:                               ;   in Loop: Header=BB38_4 Depth=1
	s_mov_b32 s1, exec_lo
	s_barrier_signal -1
	s_barrier_wait -1
.LBB38_41:                              ;   in Loop: Header=BB38_4 Depth=1
	s_or_b32 exec_lo, exec_lo, s2
.LBB38_42:                              ;   in Loop: Header=BB38_4 Depth=1
	s_delay_alu instid0(SALU_CYCLE_1)
	s_and_not1_b32 s45, s45, exec_lo
	s_or_b32 s44, s44, exec_lo
	s_and_saveexec_b32 s3, s1
	s_cbranch_execz .LBB38_3
; %bb.43:                               ;   in Loop: Header=BB38_4 Depth=1
	s_cmp_lg_u64 s[12:13], 0
	s_mov_b32 s17, -1
	s_cselect_b32 s1, -1, 0
	s_delay_alu instid0(SALU_CYCLE_1)
	s_and_b32 s1, s1, s41
	s_barrier_signal -1
	s_and_b32 vcc_lo, exec_lo, s1
	s_mov_b32 s1, -1
	s_barrier_wait -1
	s_cbranch_vccz .LBB38_64
; %bb.44:                               ;   in Loop: Header=BB38_4 Depth=1
	s_load_b64 s[30:31], s[22:23], 0xc
	s_wait_kmcnt 0x0
	s_and_b32 s1, s30, 0xffff
	s_lshr_b32 s2, s30, 16
	v_mad_u32_u24 v0, v7, s1, v6
	s_mul_i32 s35, s2, s1
	s_and_b32 s1, s31, 0xffff
	s_cmp_lt_i32 s46, 0
	s_cselect_b32 s34, s20, s46
	v_mad_u32 v0, s35, v8, v0
	s_cmp_eq_u32 s34, 0
	s_mul_i32 s35, s35, s1
	s_cbranch_scc1 .LBB38_55
; %bb.45:                               ;   in Loop: Header=BB38_4 Depth=1
	s_delay_alu instid0(VALU_DEP_1)
	v_cmp_eq_u32_e64 s1, 0, v0
	v_cmp_gt_u32_e64 s2, s20, v0
	s_mov_b32 s18, 0
	s_branch .LBB38_47
.LBB38_46:                              ;   in Loop: Header=BB38_47 Depth=2
	s_add_co_i32 s18, s18, 1
	s_delay_alu instid0(SALU_CYCLE_1)
	s_cmp_eq_u32 s18, s34
	s_cbranch_scc1 .LBB38_55
.LBB38_47:                              ;   Parent Loop BB38_4 Depth=1
                                        ; =>  This Loop Header: Depth=2
                                        ;       Child Loop BB38_50 Depth 3
                                        ;         Child Loop BB38_54 Depth 4
	v_mov_b32_e32 v2, s18
	s_barrier_signal -1
	s_barrier_wait -1
	global_load_b32 v2, v2, s[28:29] scale_offset
	s_wait_loadcnt 0x0
	v_cmp_eq_u32_e32 vcc_lo, s18, v2
	s_cbranch_vccnz .LBB38_46
; %bb.48:                               ;   in Loop: Header=BB38_47 Depth=2
	s_lshl_b64 s[30:31], s[18:19], 2
	s_delay_alu instid0(SALU_CYCLE_1)
	s_add_nc_u64 s[30:31], s[28:29], s[30:31]
	s_branch .LBB38_50
.LBB38_49:                              ;   in Loop: Header=BB38_50 Depth=3
	s_or_b32 exec_lo, exec_lo, s46
	s_wait_storecnt_dscnt 0x0
	s_barrier_signal -1
	s_barrier_wait -1
	global_load_b32 v2, v1, s[30:31]
	s_wait_loadcnt 0x0
	v_cmp_eq_u32_e32 vcc_lo, s18, v2
	s_cbranch_vccnz .LBB38_46
.LBB38_50:                              ;   Parent Loop BB38_4 Depth=1
                                        ;     Parent Loop BB38_47 Depth=2
                                        ; =>    This Loop Header: Depth=3
                                        ;         Child Loop BB38_54 Depth 4
	global_load_b32 v4, v2, s[28:29] scale_offset
	v_ashrrev_i32_e32 v3, 31, v2
	s_wait_loadcnt 0x0
	s_barrier_signal -1
	s_barrier_wait -1
	s_wait_xcnt 0x0
	s_and_saveexec_b32 s46, s1
	s_cbranch_execz .LBB38_52
; %bb.51:                               ;   in Loop: Header=BB38_50 Depth=3
	v_lshlrev_b64_e32 v[10:11], 2, v[2:3]
	s_delay_alu instid0(VALU_DEP_1)
	v_add_nc_u64_e32 v[10:11], s[28:29], v[10:11]
	s_clause 0x1
	global_store_b32 v[10:11], v2, off
	global_store_b32 v1, v4, s[30:31]
.LBB38_52:                              ;   in Loop: Header=BB38_50 Depth=3
	s_wait_xcnt 0x0
	s_or_b32 exec_lo, exec_lo, s46
	s_wait_storecnt 0x0
	s_barrier_signal -1
	s_barrier_wait -1
	s_and_saveexec_b32 s46, s2
	s_cbranch_execz .LBB38_49
; %bb.53:                               ;   in Loop: Header=BB38_50 Depth=3
	v_dual_mov_b32 v10, v0 :: v_dual_ashrrev_i32 v5, 31, v4
	v_mul_u64_e32 v[2:3], s[26:27], v[2:3]
	s_mov_b32 s47, 0
	s_delay_alu instid0(VALU_DEP_2) | instskip(NEXT) | instid1(VALU_DEP_2)
	v_mul_u64_e32 v[4:5], s[26:27], v[4:5]
	v_lshlrev_b64_e32 v[2:3], 4, v[2:3]
	s_delay_alu instid0(VALU_DEP_2) | instskip(NEXT) | instid1(VALU_DEP_2)
	v_lshlrev_b64_e32 v[4:5], 4, v[4:5]
	v_add_nc_u64_e32 v[2:3], s[12:13], v[2:3]
	s_delay_alu instid0(VALU_DEP_2)
	v_add_nc_u64_e32 v[4:5], s[12:13], v[4:5]
.LBB38_54:                              ;   Parent Loop BB38_4 Depth=1
                                        ;     Parent Loop BB38_47 Depth=2
                                        ;       Parent Loop BB38_50 Depth=3
                                        ; =>      This Inner Loop Header: Depth=4
	s_delay_alu instid0(VALU_DEP_1) | instskip(NEXT) | instid1(VALU_DEP_2)
	v_readfirstlane_b32 s50, v4
	v_readfirstlane_b32 s51, v5
	s_delay_alu instid0(VALU_DEP_4)
	v_readfirstlane_b32 s48, v2
	v_readfirstlane_b32 s49, v3
	s_clause 0x1
	global_load_b128 v[12:15], v10, s[50:51] scale_offset
	global_load_b128 v[16:19], v10, s[48:49] scale_offset
	s_wait_loadcnt 0x1
	global_store_b128 v10, v[12:15], s[48:49] scale_offset
	s_wait_loadcnt 0x0
	global_store_b128 v10, v[16:19], s[50:51] scale_offset
	s_wait_xcnt 0x0
	v_add_nc_u32_e32 v10, s35, v10
	ds_store_2addr_b64 v9, v[16:17], v[18:19] offset1:1
	v_cmp_le_u32_e32 vcc_lo, s20, v10
	s_or_b32 s47, vcc_lo, s47
	s_delay_alu instid0(SALU_CYCLE_1)
	s_and_not1_b32 exec_lo, exec_lo, s47
	s_cbranch_execnz .LBB38_54
	s_branch .LBB38_49
.LBB38_55:                              ;   in Loop: Header=BB38_4 Depth=1
	s_mov_b32 s2, -1
	s_mov_b32 s1, exec_lo
	s_barrier_signal -1
	s_barrier_wait -1
	s_delay_alu instid0(VALU_DEP_1)
	v_cmpx_gt_u32_e64 s34, v0
	s_cbranch_execz .LBB38_61
; %bb.56:                               ;   in Loop: Header=BB38_4 Depth=1
	s_mov_b32 s2, 0
                                        ; implicit-def: $sgpr12
                                        ; implicit-def: $sgpr18
                                        ; implicit-def: $sgpr13
	s_branch .LBB38_58
.LBB38_57:                              ;   in Loop: Header=BB38_58 Depth=2
	s_or_b32 exec_lo, exec_lo, s30
	s_xor_b32 s30, s13, -1
	s_and_b32 s31, exec_lo, s18
	s_delay_alu instid0(SALU_CYCLE_1) | instskip(SKIP_2) | instid1(SALU_CYCLE_1)
	s_or_b32 s2, s31, s2
	s_and_not1_b32 s12, s12, exec_lo
	s_and_b32 s30, s30, exec_lo
	s_or_b32 s12, s12, s30
	s_and_not1_b32 exec_lo, exec_lo, s2
	s_cbranch_execz .LBB38_60
.LBB38_58:                              ;   Parent Loop BB38_4 Depth=1
                                        ; =>  This Inner Loop Header: Depth=2
	global_load_b32 v2, v0, s[28:29] scale_offset
	s_or_b32 s13, s13, exec_lo
	s_or_b32 s18, s18, exec_lo
	s_mov_b32 s30, exec_lo
	s_wait_loadcnt 0x0
	v_cmpx_eq_u32_e64 v0, v2
	s_cbranch_execz .LBB38_57
; %bb.59:                               ;   in Loop: Header=BB38_58 Depth=2
	v_add_nc_u32_e32 v0, s35, v0
	s_and_not1_b32 s18, s18, exec_lo
	s_and_not1_b32 s13, s13, exec_lo
	s_delay_alu instid0(VALU_DEP_1) | instskip(SKIP_1) | instid1(SALU_CYCLE_1)
	v_cmp_le_u32_e32 vcc_lo, s34, v0
	s_and_b32 s31, vcc_lo, exec_lo
	s_or_b32 s18, s18, s31
	s_branch .LBB38_57
.LBB38_60:                              ;   in Loop: Header=BB38_4 Depth=1
	s_or_b32 exec_lo, exec_lo, s2
	s_delay_alu instid0(SALU_CYCLE_1)
	s_or_not1_b32 s2, s12, exec_lo
.LBB38_61:                              ;   in Loop: Header=BB38_4 Depth=1
	s_or_b32 exec_lo, exec_lo, s1
	s_mov_b32 s1, 0
	s_and_saveexec_b32 s12, s2
	s_cbranch_execz .LBB38_63
; %bb.62:                               ;   in Loop: Header=BB38_4 Depth=1
	s_mov_b32 s1, exec_lo
	s_barrier_signal -1
	s_barrier_wait -1
.LBB38_63:                              ;   in Loop: Header=BB38_4 Depth=1
	s_or_b32 exec_lo, exec_lo, s12
.LBB38_64:                              ;   in Loop: Header=BB38_4 Depth=1
	s_mov_b32 s12, -1
	s_and_saveexec_b32 s2, s1
	s_cbranch_execz .LBB38_2
; %bb.65:                               ;   in Loop: Header=BB38_4 Depth=1
	s_add_co_i32 s16, s16, s36
	s_delay_alu instid0(SALU_CYCLE_1)
	s_cmp_ge_i32 s16, s33
	s_barrier_signal -1
	s_cselect_b32 s1, -1, 0
	s_xor_b32 s12, exec_lo, -1
	s_or_not1_b32 s17, s1, exec_lo
	s_barrier_wait -1
	s_branch .LBB38_2
.LBB38_66:
	s_or_b32 exec_lo, exec_lo, s42
	s_xor_b32 s0, s43, -1
	s_mov_b32 s21, 0
	s_and_saveexec_b32 s1, s0
	s_delay_alu instid0(SALU_CYCLE_1)
	s_xor_b32 s24, exec_lo, s1
	s_cbranch_execnz .LBB38_71
; %bb.67:
	s_and_not1_saveexec_b32 s24, s24
	s_cbranch_execnz .LBB38_74
.LBB38_68:
	s_or_b32 exec_lo, exec_lo, s24
	s_and_saveexec_b32 s0, s21
.LBB38_69:
	; divergent unreachable
.LBB38_70:
	s_endpgm
.LBB38_71:
	s_mov_b32 s0, 0
	s_and_saveexec_b32 s1, s40
	s_delay_alu instid0(SALU_CYCLE_1)
	s_xor_b32 s21, exec_lo, s1
	s_cbranch_execz .LBB38_73
; %bb.72:
	s_get_pc_i64 s[0:1]
	s_add_nc_u64 s[0:1], s[0:1], .str.8@rel64+4
	s_get_pc_i64 s[2:3]
	s_add_nc_u64 s[2:3], s[2:3], __PRETTY_FUNCTION__._ZN9rocsolver6v33100L12permute_swapI19rocblas_complex_numIdEiEEvT0_PT_S4_PS4_S4_@rel64+4
	v_dual_mov_b32 v0, s0 :: v_dual_mov_b32 v1, s1
	v_dual_mov_b32 v2, 0x25b :: v_dual_mov_b32 v3, s2
	v_mov_b32_e32 v4, s3
	s_get_pc_i64 s[4:5]
	s_add_nc_u64 s[4:5], s[4:5], __assert_fail@rel64+4
	s_mov_b64 s[8:9], s[22:23]
	s_swap_pc_i64 s[30:31], s[4:5]
	s_mov_b32 s0, exec_lo
.LBB38_73:
	s_or_b32 exec_lo, exec_lo, s21
	s_delay_alu instid0(SALU_CYCLE_1)
	s_and_b32 s21, s0, exec_lo
	s_and_not1_saveexec_b32 s24, s24
	s_cbranch_execz .LBB38_68
.LBB38_74:
	s_get_pc_i64 s[0:1]
	s_add_nc_u64 s[0:1], s[0:1], .str.5@rel64+4
	s_get_pc_i64 s[2:3]
	s_add_nc_u64 s[2:3], s[2:3], __PRETTY_FUNCTION__._ZN9rocsolver6v33100L20shell_sort_ascendingIdiEEvT0_PT_PS2_@rel64+4
	v_dual_mov_b32 v0, s0 :: v_dual_mov_b32 v1, s1
	v_dual_mov_b32 v2, 0xea :: v_dual_mov_b32 v3, s2
	v_mov_b32_e32 v4, s3
	s_get_pc_i64 s[4:5]
	s_add_nc_u64 s[4:5], s[4:5], __assert_fail@rel64+4
	s_mov_b64 s[8:9], s[22:23]
	s_swap_pc_i64 s[30:31], s[4:5]
	s_or_b32 s21, s21, exec_lo
	s_or_b32 exec_lo, exec_lo, s24
	s_and_saveexec_b32 s0, s21
	s_cbranch_execnz .LBB38_69
	s_branch .LBB38_70
	.section	.rodata,"a",@progbits
	.p2align	6, 0x0
	.amdhsa_kernel _ZN9rocsolver6v33100L11stedcx_sortI19rocblas_complex_numIdEdPS3_EEviPT0_lT1_iiliPiS8_
		.amdhsa_group_segment_fixed_size 4096
		.amdhsa_private_segment_fixed_size 64
		.amdhsa_kernarg_size 328
		.amdhsa_user_sgpr_count 4
		.amdhsa_user_sgpr_dispatch_ptr 1
		.amdhsa_user_sgpr_queue_ptr 0
		.amdhsa_user_sgpr_kernarg_segment_ptr 1
		.amdhsa_user_sgpr_dispatch_id 0
		.amdhsa_user_sgpr_kernarg_preload_length 0
		.amdhsa_user_sgpr_kernarg_preload_offset 0
		.amdhsa_user_sgpr_private_segment_size 0
		.amdhsa_wavefront_size32 1
		.amdhsa_uses_dynamic_stack 0
		.amdhsa_enable_private_segment 1
		.amdhsa_system_sgpr_workgroup_id_x 1
		.amdhsa_system_sgpr_workgroup_id_y 0
		.amdhsa_system_sgpr_workgroup_id_z 1
		.amdhsa_system_sgpr_workgroup_info 0
		.amdhsa_system_vgpr_workitem_id 2
		.amdhsa_next_free_vgpr 53
		.amdhsa_next_free_sgpr 54
		.amdhsa_named_barrier_count 0
		.amdhsa_reserve_vcc 1
		.amdhsa_float_round_mode_32 0
		.amdhsa_float_round_mode_16_64 0
		.amdhsa_float_denorm_mode_32 3
		.amdhsa_float_denorm_mode_16_64 3
		.amdhsa_fp16_overflow 0
		.amdhsa_memory_ordered 1
		.amdhsa_forward_progress 1
		.amdhsa_inst_pref_size 20
		.amdhsa_round_robin_scheduling 0
		.amdhsa_exception_fp_ieee_invalid_op 0
		.amdhsa_exception_fp_denorm_src 0
		.amdhsa_exception_fp_ieee_div_zero 0
		.amdhsa_exception_fp_ieee_overflow 0
		.amdhsa_exception_fp_ieee_underflow 0
		.amdhsa_exception_fp_ieee_inexact 0
		.amdhsa_exception_int_div_zero 0
	.end_amdhsa_kernel
	.section	.text._ZN9rocsolver6v33100L11stedcx_sortI19rocblas_complex_numIdEdPS3_EEviPT0_lT1_iiliPiS8_,"axG",@progbits,_ZN9rocsolver6v33100L11stedcx_sortI19rocblas_complex_numIdEdPS3_EEviPT0_lT1_iiliPiS8_,comdat
.Lfunc_end38:
	.size	_ZN9rocsolver6v33100L11stedcx_sortI19rocblas_complex_numIdEdPS3_EEviPT0_lT1_iiliPiS8_, .Lfunc_end38-_ZN9rocsolver6v33100L11stedcx_sortI19rocblas_complex_numIdEdPS3_EEviPT0_lT1_iiliPiS8_
                                        ; -- End function
	.set _ZN9rocsolver6v33100L11stedcx_sortI19rocblas_complex_numIdEdPS3_EEviPT0_lT1_iiliPiS8_.num_vgpr, max(20, .L__assert_fail.num_vgpr)
	.set _ZN9rocsolver6v33100L11stedcx_sortI19rocblas_complex_numIdEdPS3_EEviPT0_lT1_iiliPiS8_.num_agpr, max(0, .L__assert_fail.num_agpr)
	.set _ZN9rocsolver6v33100L11stedcx_sortI19rocblas_complex_numIdEdPS3_EEviPT0_lT1_iiliPiS8_.numbered_sgpr, max(54, .L__assert_fail.numbered_sgpr)
	.set _ZN9rocsolver6v33100L11stedcx_sortI19rocblas_complex_numIdEdPS3_EEviPT0_lT1_iiliPiS8_.num_named_barrier, max(0, .L__assert_fail.num_named_barrier)
	.set _ZN9rocsolver6v33100L11stedcx_sortI19rocblas_complex_numIdEdPS3_EEviPT0_lT1_iiliPiS8_.private_seg_size, 0+max(.L__assert_fail.private_seg_size)
	.set _ZN9rocsolver6v33100L11stedcx_sortI19rocblas_complex_numIdEdPS3_EEviPT0_lT1_iiliPiS8_.uses_vcc, or(1, .L__assert_fail.uses_vcc)
	.set _ZN9rocsolver6v33100L11stedcx_sortI19rocblas_complex_numIdEdPS3_EEviPT0_lT1_iiliPiS8_.uses_flat_scratch, or(0, .L__assert_fail.uses_flat_scratch)
	.set _ZN9rocsolver6v33100L11stedcx_sortI19rocblas_complex_numIdEdPS3_EEviPT0_lT1_iiliPiS8_.has_dyn_sized_stack, or(0, .L__assert_fail.has_dyn_sized_stack)
	.set _ZN9rocsolver6v33100L11stedcx_sortI19rocblas_complex_numIdEdPS3_EEviPT0_lT1_iiliPiS8_.has_recursion, or(0, .L__assert_fail.has_recursion)
	.set _ZN9rocsolver6v33100L11stedcx_sortI19rocblas_complex_numIdEdPS3_EEviPT0_lT1_iiliPiS8_.has_indirect_call, or(0, .L__assert_fail.has_indirect_call)
	.section	.AMDGPU.csdata,"",@progbits
; Kernel info:
; codeLenInByte = 2456
; TotalNumSgprs: 56
; NumVgprs: 53
; ScratchSize: 64
; MemoryBound: 0
; FloatMode: 240
; IeeeMode: 1
; LDSByteSize: 4096 bytes/workgroup (compile time only)
; SGPRBlocks: 0
; VGPRBlocks: 3
; NumSGPRsForWavesPerEU: 56
; NumVGPRsForWavesPerEU: 53
; NamedBarCnt: 0
; Occupancy: 16
; WaveLimiterHint : 1
; COMPUTE_PGM_RSRC2:SCRATCH_EN: 1
; COMPUTE_PGM_RSRC2:USER_SGPR: 4
; COMPUTE_PGM_RSRC2:TRAP_HANDLER: 0
; COMPUTE_PGM_RSRC2:TGID_X_EN: 1
; COMPUTE_PGM_RSRC2:TGID_Y_EN: 0
; COMPUTE_PGM_RSRC2:TGID_Z_EN: 1
; COMPUTE_PGM_RSRC2:TIDIG_COMP_CNT: 2
	.text
	.p2alignl 7, 3214868480
	.fill 96, 4, 3214868480
	.section	.AMDGPU.gpr_maximums,"",@progbits
	.set amdgpu.max_num_vgpr, 53
	.set amdgpu.max_num_agpr, 0
	.set amdgpu.max_num_sgpr, 34
	.text
	.type	__const.__assert_fail.fmt,@object ; @__const.__assert_fail.fmt
	.section	.rodata.str1.16,"aMS",@progbits,1
	.p2align	4, 0x0
__const.__assert_fail.fmt:
	.asciz	"%s:%u: %s: Device-side assertion `%s' failed.\n"
	.size	__const.__assert_fail.fmt, 47

	.type	__const._ZN9rocsolver6v33100L20shell_sort_ascendingIfiEEvT0_PT_PS2_.gaps,@object ; @__const._ZN9rocsolver6v33100L20shell_sort_ascendingIfiEEvT0_PT_PS2_.gaps
	.section	.rodata.cst32,"aM",@progbits,32
	.p2align	4, 0x0
__const._ZN9rocsolver6v33100L20shell_sort_ascendingIfiEEvT0_PT_PS2_.gaps:
	.long	701                             ; 0x2bd
	.long	301                             ; 0x12d
	;; [unrolled: 1-line block ×3, first 2 shown]
	.long	57                              ; 0x39
	.long	23                              ; 0x17
	;; [unrolled: 1-line block ×3, first 2 shown]
	.long	4                               ; 0x4
	.long	1                               ; 0x1
	.size	__const._ZN9rocsolver6v33100L20shell_sort_ascendingIfiEEvT0_PT_PS2_.gaps, 32

	.type	.str.5,@object                  ; @.str.5
	.section	.rodata.str1.1,"aMS",@progbits,1
.str.5:
	.asciz	"std::isnan(a[k]) || std::isnan(a[k + 1]) || a[k] <= a[k + 1]"
	.size	.str.5, 61

	.type	.str.6,@object                  ; @.str.6
.str.6:
	.asciz	"/root/src/amdgpu-assembly/repos/ROCm__rocSOLVER/library/src/include/lib_device_helpers.hpp"
	.size	.str.6, 91

	.type	__PRETTY_FUNCTION__._ZN9rocsolver6v33100L20shell_sort_ascendingIfiEEvT0_PT_PS2_,@object ; @__PRETTY_FUNCTION__._ZN9rocsolver6v33100L20shell_sort_ascendingIfiEEvT0_PT_PS2_
__PRETTY_FUNCTION__._ZN9rocsolver6v33100L20shell_sort_ascendingIfiEEvT0_PT_PS2_:
	.asciz	"void rocsolver::shell_sort_ascending(const I, S *, I *) [S = float, I = int]"
	.size	__PRETTY_FUNCTION__._ZN9rocsolver6v33100L20shell_sort_ascendingIfiEEvT0_PT_PS2_, 77

	.type	.str.8,@object                  ; @.str.8
.str.8:
	.asciz	"std::isnan(map[k]) || map[k] == k"
	.size	.str.8, 34

	.type	__PRETTY_FUNCTION__._ZN9rocsolver6v33100L12permute_swapIfiEEvT0_PT_S2_PS2_S2_,@object ; @__PRETTY_FUNCTION__._ZN9rocsolver6v33100L12permute_swapIfiEEvT0_PT_S2_PS2_S2_
__PRETTY_FUNCTION__._ZN9rocsolver6v33100L12permute_swapIfiEEvT0_PT_S2_PS2_S2_:
	.asciz	"void rocsolver::permute_swap(const I, T *, I, I *, const I) [T = float, I = int]"
	.size	__PRETTY_FUNCTION__._ZN9rocsolver6v33100L12permute_swapIfiEEvT0_PT_S2_PS2_S2_, 81

	.type	__const._ZN9rocsolver6v33100L20shell_sort_ascendingIdiEEvT0_PT_PS2_.gaps,@object ; @__const._ZN9rocsolver6v33100L20shell_sort_ascendingIdiEEvT0_PT_PS2_.gaps
	.section	.rodata.cst32,"aM",@progbits,32
	.p2align	4, 0x0
__const._ZN9rocsolver6v33100L20shell_sort_ascendingIdiEEvT0_PT_PS2_.gaps:
	.long	701                             ; 0x2bd
	.long	301                             ; 0x12d
	.long	132                             ; 0x84
	.long	57                              ; 0x39
	.long	23                              ; 0x17
	;; [unrolled: 1-line block ×3, first 2 shown]
	.long	4                               ; 0x4
	.long	1                               ; 0x1
	.size	__const._ZN9rocsolver6v33100L20shell_sort_ascendingIdiEEvT0_PT_PS2_.gaps, 32

	.type	__PRETTY_FUNCTION__._ZN9rocsolver6v33100L20shell_sort_ascendingIdiEEvT0_PT_PS2_,@object ; @__PRETTY_FUNCTION__._ZN9rocsolver6v33100L20shell_sort_ascendingIdiEEvT0_PT_PS2_
	.section	.rodata.str1.1,"aMS",@progbits,1
__PRETTY_FUNCTION__._ZN9rocsolver6v33100L20shell_sort_ascendingIdiEEvT0_PT_PS2_:
	.asciz	"void rocsolver::shell_sort_ascending(const I, S *, I *) [S = double, I = int]"
	.size	__PRETTY_FUNCTION__._ZN9rocsolver6v33100L20shell_sort_ascendingIdiEEvT0_PT_PS2_, 78

	.type	__PRETTY_FUNCTION__._ZN9rocsolver6v33100L12permute_swapIdiEEvT0_PT_S2_PS2_S2_,@object ; @__PRETTY_FUNCTION__._ZN9rocsolver6v33100L12permute_swapIdiEEvT0_PT_S2_PS2_S2_
__PRETTY_FUNCTION__._ZN9rocsolver6v33100L12permute_swapIdiEEvT0_PT_S2_PS2_S2_:
	.asciz	"void rocsolver::permute_swap(const I, T *, I, I *, const I) [T = double, I = int]"
	.size	__PRETTY_FUNCTION__._ZN9rocsolver6v33100L12permute_swapIdiEEvT0_PT_S2_PS2_S2_, 82

	.type	__PRETTY_FUNCTION__._ZN9rocsolver6v33100L12permute_swapI19rocblas_complex_numIfEiEEvT0_PT_S4_PS4_S4_,@object ; @__PRETTY_FUNCTION__._ZN9rocsolver6v33100L12permute_swapI19rocblas_complex_numIfEiEEvT0_PT_S4_PS4_S4_
__PRETTY_FUNCTION__._ZN9rocsolver6v33100L12permute_swapI19rocblas_complex_numIfEiEEvT0_PT_S4_PS4_S4_:
	.asciz	"void rocsolver::permute_swap(const I, T *, I, I *, const I) [T = rocblas_complex_num<float>, I = int]"
	.size	__PRETTY_FUNCTION__._ZN9rocsolver6v33100L12permute_swapI19rocblas_complex_numIfEiEEvT0_PT_S4_PS4_S4_, 102

	.type	__PRETTY_FUNCTION__._ZN9rocsolver6v33100L12permute_swapI19rocblas_complex_numIdEiEEvT0_PT_S4_PS4_S4_,@object ; @__PRETTY_FUNCTION__._ZN9rocsolver6v33100L12permute_swapI19rocblas_complex_numIdEiEEvT0_PT_S4_PS4_S4_
__PRETTY_FUNCTION__._ZN9rocsolver6v33100L12permute_swapI19rocblas_complex_numIdEiEEvT0_PT_S4_PS4_S4_:
	.asciz	"void rocsolver::permute_swap(const I, T *, I, I *, const I) [T = rocblas_complex_num<double>, I = int]"
	.size	__PRETTY_FUNCTION__._ZN9rocsolver6v33100L12permute_swapI19rocblas_complex_numIdEiEEvT0_PT_S4_PS4_S4_, 103

	.type	__hip_cuid_da47f1119aba0af7,@object ; @__hip_cuid_da47f1119aba0af7
	.section	.bss,"aw",@nobits
	.globl	__hip_cuid_da47f1119aba0af7
__hip_cuid_da47f1119aba0af7:
	.byte	0                               ; 0x0
	.size	__hip_cuid_da47f1119aba0af7, 1

	.ident	"AMD clang version 22.0.0git (https://github.com/RadeonOpenCompute/llvm-project roc-7.2.4 26084 f58b06dce1f9c15707c5f808fd002e18c2accf7e)"
	.section	".note.GNU-stack","",@progbits
	.addrsig
	.addrsig_sym __hip_cuid_da47f1119aba0af7
	.amdgpu_metadata
---
amdhsa.kernels:
  - .args:
      - .address_space:  global
        .offset:         0
        .size:           8
        .value_kind:     global_buffer
      - .offset:         8
        .size:           4
        .value_kind:     by_value
      - .offset:         12
        .size:           4
        .value_kind:     by_value
      - .offset:         16
        .size:           4
        .value_kind:     by_value
      - .offset:         24
        .size:           4
        .value_kind:     hidden_block_count_x
      - .offset:         28
        .size:           4
        .value_kind:     hidden_block_count_y
      - .offset:         32
        .size:           4
        .value_kind:     hidden_block_count_z
      - .offset:         36
        .size:           2
        .value_kind:     hidden_group_size_x
      - .offset:         38
        .size:           2
        .value_kind:     hidden_group_size_y
      - .offset:         40
        .size:           2
        .value_kind:     hidden_group_size_z
      - .offset:         42
        .size:           2
        .value_kind:     hidden_remainder_x
      - .offset:         44
        .size:           2
        .value_kind:     hidden_remainder_y
      - .offset:         46
        .size:           2
        .value_kind:     hidden_remainder_z
      - .offset:         64
        .size:           8
        .value_kind:     hidden_global_offset_x
      - .offset:         72
        .size:           8
        .value_kind:     hidden_global_offset_y
      - .offset:         80
        .size:           8
        .value_kind:     hidden_global_offset_z
      - .offset:         88
        .size:           2
        .value_kind:     hidden_grid_dims
    .group_segment_fixed_size: 0
    .kernarg_segment_align: 8
    .kernarg_segment_size: 280
    .language:       OpenCL C
    .language_version:
      - 2
      - 0
    .max_flat_workgroup_size: 1024
    .name:           _ZN9rocsolver6v33100L10reset_infoIiiiEEvPT_T0_T1_S4_
    .private_segment_fixed_size: 0
    .sgpr_count:     9
    .sgpr_spill_count: 0
    .symbol:         _ZN9rocsolver6v33100L10reset_infoIiiiEEvPT_T0_T1_S4_.kd
    .uniform_work_group_size: 1
    .uses_dynamic_stack: false
    .vgpr_count:     2
    .vgpr_spill_count: 0
    .wavefront_size: 32
  - .args:
      - .address_space:  global
        .offset:         0
        .size:           8
        .value_kind:     global_buffer
      - .offset:         8
        .size:           8
        .value_kind:     by_value
      - .offset:         16
        .size:           4
        .value_kind:     by_value
      - .offset:         20
        .size:           4
        .value_kind:     by_value
      - .offset:         24
        .size:           4
        .value_kind:     hidden_block_count_x
      - .offset:         28
        .size:           4
        .value_kind:     hidden_block_count_y
      - .offset:         32
        .size:           4
        .value_kind:     hidden_block_count_z
      - .offset:         36
        .size:           2
        .value_kind:     hidden_group_size_x
      - .offset:         38
        .size:           2
        .value_kind:     hidden_group_size_y
      - .offset:         40
        .size:           2
        .value_kind:     hidden_group_size_z
      - .offset:         42
        .size:           2
        .value_kind:     hidden_remainder_x
      - .offset:         44
        .size:           2
        .value_kind:     hidden_remainder_y
      - .offset:         46
        .size:           2
        .value_kind:     hidden_remainder_z
      - .offset:         64
        .size:           8
        .value_kind:     hidden_global_offset_x
      - .offset:         72
        .size:           8
        .value_kind:     hidden_global_offset_y
      - .offset:         80
        .size:           8
        .value_kind:     hidden_global_offset_z
      - .offset:         88
        .size:           2
        .value_kind:     hidden_grid_dims
    .group_segment_fixed_size: 0
    .kernarg_segment_align: 8
    .kernarg_segment_size: 280
    .language:       OpenCL C
    .language_version:
      - 2
      - 0
    .max_flat_workgroup_size: 1024
    .name:           _ZN9rocsolver6v33100L16reset_batch_infoIfiiPfEEvT2_lT0_T1_
    .private_segment_fixed_size: 0
    .sgpr_count:     14
    .sgpr_spill_count: 0
    .symbol:         _ZN9rocsolver6v33100L16reset_batch_infoIfiiPfEEvT2_lT0_T1_.kd
    .uniform_work_group_size: 1
    .uses_dynamic_stack: false
    .vgpr_count:     2
    .vgpr_spill_count: 0
    .wavefront_size: 32
  - .args:
      - .offset:         0
        .size:           4
        .value_kind:     by_value
      - .offset:         4
        .size:           4
        .value_kind:     by_value
      - .offset:         8
        .size:           4
        .value_kind:     by_value
      - .address_space:  global
        .offset:         16
        .size:           8
        .value_kind:     global_buffer
      - .offset:         24
        .size:           8
        .value_kind:     by_value
      - .address_space:  global
        .offset:         32
        .size:           8
        .value_kind:     global_buffer
      - .address_space:  global
        .offset:         40
        .size:           8
        .value_kind:     global_buffer
      - .offset:         48
        .size:           8
        .value_kind:     by_value
    .group_segment_fixed_size: 0
    .kernarg_segment_align: 8
    .kernarg_segment_size: 56
    .language:       OpenCL C
    .language_version:
      - 2
      - 0
    .max_flat_workgroup_size: 1024
    .name:           _ZN9rocsolver6v33100L19stedcx_case1_kernelIfEEv15rocblas_erange_T_S3_PS3_lPiS4_l
    .private_segment_fixed_size: 0
    .sgpr_count:     17
    .sgpr_spill_count: 0
    .symbol:         _ZN9rocsolver6v33100L19stedcx_case1_kernelIfEEv15rocblas_erange_T_S3_PS3_lPiS4_l.kd
    .uniform_work_group_size: 1
    .uses_dynamic_stack: false
    .vgpr_count:     3
    .vgpr_spill_count: 0
    .wavefront_size: 32
  - .args:
      - .offset:         0
        .size:           4
        .value_kind:     by_value
      - .offset:         4
        .size:           4
        .value_kind:     by_value
      - .address_space:  global
        .offset:         8
        .size:           8
        .value_kind:     global_buffer
      - .offset:         16
        .size:           4
        .value_kind:     by_value
      - .offset:         20
        .size:           4
        .value_kind:     by_value
      - .offset:         24
        .size:           8
        .value_kind:     by_value
      - .offset:         32
        .size:           4
        .value_kind:     hidden_block_count_x
      - .offset:         36
        .size:           4
        .value_kind:     hidden_block_count_y
      - .offset:         40
        .size:           4
        .value_kind:     hidden_block_count_z
      - .offset:         44
        .size:           2
        .value_kind:     hidden_group_size_x
      - .offset:         46
        .size:           2
        .value_kind:     hidden_group_size_y
      - .offset:         48
        .size:           2
        .value_kind:     hidden_group_size_z
      - .offset:         50
        .size:           2
        .value_kind:     hidden_remainder_x
      - .offset:         52
        .size:           2
        .value_kind:     hidden_remainder_y
      - .offset:         54
        .size:           2
        .value_kind:     hidden_remainder_z
      - .offset:         72
        .size:           8
        .value_kind:     hidden_global_offset_x
      - .offset:         80
        .size:           8
        .value_kind:     hidden_global_offset_y
      - .offset:         88
        .size:           8
        .value_kind:     hidden_global_offset_z
      - .offset:         96
        .size:           2
        .value_kind:     hidden_grid_dims
    .group_segment_fixed_size: 0
    .kernarg_segment_align: 8
    .kernarg_segment_size: 288
    .language:       OpenCL C
    .language_version:
      - 2
      - 0
    .max_flat_workgroup_size: 1024
    .name:           _ZN9rocsolver6v33100L10init_identIfPfEEviiT0_iil
    .private_segment_fixed_size: 0
    .sgpr_count:     13
    .sgpr_spill_count: 0
    .symbol:         _ZN9rocsolver6v33100L10init_identIfPfEEviiT0_iil.kd
    .uniform_work_group_size: 1
    .uses_dynamic_stack: false
    .vgpr_count:     3
    .vgpr_spill_count: 0
    .wavefront_size: 32
  - .args:
      - .offset:         0
        .size:           4
        .value_kind:     by_value
      - .offset:         4
        .size:           4
        .value_kind:     by_value
      - .offset:         8
        .size:           4
        .value_kind:     by_value
      - .offset:         12
        .size:           4
        .value_kind:     by_value
      - .offset:         16
        .size:           4
        .value_kind:     by_value
      - .offset:         20
        .size:           4
        .value_kind:     by_value
      - .address_space:  global
        .offset:         24
        .size:           8
        .value_kind:     global_buffer
      - .offset:         32
        .size:           8
        .value_kind:     by_value
      - .address_space:  global
        .offset:         40
        .size:           8
        .value_kind:     global_buffer
      - .offset:         48
        .size:           8
        .value_kind:     by_value
      - .address_space:  global
        .offset:         56
        .size:           8
        .value_kind:     global_buffer
      - .offset:         64
        .size:           8
        .value_kind:     by_value
      - .address_space:  global
        .offset:         72
        .size:           8
        .value_kind:     global_buffer
      - .address_space:  global
        .offset:         80
        .size:           8
        .value_kind:     global_buffer
      - .offset:         88
        .size:           4
        .value_kind:     by_value
      - .offset:         92
        .size:           4
        .value_kind:     by_value
      - .offset:         96
        .size:           4
        .value_kind:     hidden_block_count_x
      - .offset:         100
        .size:           4
        .value_kind:     hidden_block_count_y
      - .offset:         104
        .size:           4
        .value_kind:     hidden_block_count_z
      - .offset:         108
        .size:           2
        .value_kind:     hidden_group_size_x
      - .offset:         110
        .size:           2
        .value_kind:     hidden_group_size_y
      - .offset:         112
        .size:           2
        .value_kind:     hidden_group_size_z
      - .offset:         114
        .size:           2
        .value_kind:     hidden_remainder_x
      - .offset:         116
        .size:           2
        .value_kind:     hidden_remainder_y
      - .offset:         118
        .size:           2
        .value_kind:     hidden_remainder_z
      - .offset:         136
        .size:           8
        .value_kind:     hidden_global_offset_x
      - .offset:         144
        .size:           8
        .value_kind:     hidden_global_offset_y
      - .offset:         152
        .size:           8
        .value_kind:     hidden_global_offset_z
      - .offset:         160
        .size:           2
        .value_kind:     hidden_grid_dims
    .group_segment_fixed_size: 2048
    .kernarg_segment_align: 8
    .kernarg_segment_size: 352
    .language:       OpenCL C
    .language_version:
      - 2
      - 0
    .max_flat_workgroup_size: 256
    .name:           _ZN9rocsolver6v33100L19stedcx_split_kernelIfEEv15rocblas_erange_iT_S3_iiPS3_lS4_lS4_lPiS4_S3_S3_
    .private_segment_fixed_size: 0
    .sgpr_count:     58
    .sgpr_spill_count: 0
    .symbol:         _ZN9rocsolver6v33100L19stedcx_split_kernelIfEEv15rocblas_erange_iT_S3_iiPS3_lS4_lS4_lPiS4_S3_S3_.kd
    .uniform_work_group_size: 1
    .uses_dynamic_stack: false
    .vgpr_count:     32
    .vgpr_spill_count: 0
    .wavefront_size: 32
  - .args:
      - .offset:         0
        .size:           4
        .value_kind:     by_value
      - .address_space:  global
        .offset:         8
        .size:           8
        .value_kind:     global_buffer
      - .offset:         16
        .size:           8
        .value_kind:     by_value
      - .address_space:  global
        .offset:         24
        .size:           8
        .value_kind:     global_buffer
      - .offset:         32
        .size:           8
        .value_kind:     by_value
      - .address_space:  global
        .offset:         40
        .size:           8
        .value_kind:     global_buffer
    .group_segment_fixed_size: 0
    .kernarg_segment_align: 8
    .kernarg_segment_size: 48
    .language:       OpenCL C
    .language_version:
      - 2
      - 0
    .max_flat_workgroup_size: 512
    .name:           _ZN9rocsolver6v33100L20stedcx_divide_kernelIfEEviPT_lS3_lPi
    .private_segment_fixed_size: 0
    .sgpr_count:     30
    .sgpr_spill_count: 0
    .symbol:         _ZN9rocsolver6v33100L20stedcx_divide_kernelIfEEviPT_lS3_lPi.kd
    .uniform_work_group_size: 1
    .uses_dynamic_stack: false
    .vgpr_count:     20
    .vgpr_spill_count: 0
    .wavefront_size: 32
  - .args:
      - .offset:         0
        .size:           4
        .value_kind:     by_value
      - .address_space:  global
        .offset:         8
        .size:           8
        .value_kind:     global_buffer
      - .offset:         16
        .size:           8
        .value_kind:     by_value
      - .address_space:  global
        .offset:         24
        .size:           8
        .value_kind:     global_buffer
      - .offset:         32
        .size:           8
        .value_kind:     by_value
      - .address_space:  global
        .offset:         40
        .size:           8
        .value_kind:     global_buffer
      - .offset:         48
        .size:           4
        .value_kind:     by_value
      - .offset:         52
        .size:           4
        .value_kind:     by_value
      - .offset:         56
        .size:           8
        .value_kind:     by_value
      - .address_space:  global
        .offset:         64
        .size:           8
        .value_kind:     global_buffer
      - .address_space:  global
        .offset:         72
        .size:           8
        .value_kind:     global_buffer
      - .address_space:  global
        .offset:         80
        .size:           8
        .value_kind:     global_buffer
      - .offset:         88
        .size:           4
        .value_kind:     by_value
      - .offset:         92
        .size:           4
        .value_kind:     by_value
      - .offset:         96
        .size:           4
        .value_kind:     by_value
      - .offset:         104
        .size:           4
        .value_kind:     hidden_block_count_x
      - .offset:         108
        .size:           4
        .value_kind:     hidden_block_count_y
      - .offset:         112
        .size:           4
        .value_kind:     hidden_block_count_z
      - .offset:         116
        .size:           2
        .value_kind:     hidden_group_size_x
      - .offset:         118
        .size:           2
        .value_kind:     hidden_group_size_y
      - .offset:         120
        .size:           2
        .value_kind:     hidden_group_size_z
      - .offset:         122
        .size:           2
        .value_kind:     hidden_remainder_x
      - .offset:         124
        .size:           2
        .value_kind:     hidden_remainder_y
      - .offset:         126
        .size:           2
        .value_kind:     hidden_remainder_z
      - .offset:         144
        .size:           8
        .value_kind:     hidden_global_offset_x
      - .offset:         152
        .size:           8
        .value_kind:     hidden_global_offset_y
      - .offset:         160
        .size:           8
        .value_kind:     hidden_global_offset_z
      - .offset:         168
        .size:           2
        .value_kind:     hidden_grid_dims
    .group_segment_fixed_size: 36
    .kernarg_segment_align: 8
    .kernarg_segment_size: 360
    .language:       OpenCL C
    .language_version:
      - 2
      - 0
    .max_flat_workgroup_size: 512
    .name:           _ZN9rocsolver6v33100L19stedcx_solve_kernelIfEEviPT_lS3_lS3_iilPiS3_S4_S2_S2_S2_
    .private_segment_fixed_size: 0
    .sgpr_count:     103
    .sgpr_spill_count: 0
    .symbol:         _ZN9rocsolver6v33100L19stedcx_solve_kernelIfEEviPT_lS3_lS3_iilPiS3_S4_S2_S2_S2_.kd
    .uniform_work_group_size: 1
    .uses_dynamic_stack: false
    .vgpr_count:     72
    .vgpr_spill_count: 0
    .wavefront_size: 32
  - .args:
      - .offset:         0
        .size:           4
        .value_kind:     by_value
      - .offset:         4
        .size:           4
        .value_kind:     by_value
      - .address_space:  global
        .offset:         8
        .size:           8
        .value_kind:     global_buffer
      - .offset:         16
        .size:           8
        .value_kind:     by_value
      - .address_space:  global
        .offset:         24
        .size:           8
        .value_kind:     global_buffer
      - .offset:         32
        .size:           8
        .value_kind:     by_value
      - .address_space:  global
        .offset:         40
        .size:           8
        .value_kind:     global_buffer
      - .offset:         48
        .size:           4
        .value_kind:     by_value
      - .offset:         52
        .size:           4
        .value_kind:     by_value
      - .offset:         56
        .size:           8
        .value_kind:     by_value
      - .address_space:  global
        .offset:         64
        .size:           8
        .value_kind:     global_buffer
      - .address_space:  global
        .offset:         72
        .size:           8
        .value_kind:     global_buffer
      - .address_space:  global
        .offset:         80
        .size:           8
        .value_kind:     global_buffer
      - .offset:         88
        .size:           4
        .value_kind:     by_value
      - .offset:         96
        .size:           4
        .value_kind:     hidden_block_count_x
      - .offset:         100
        .size:           4
        .value_kind:     hidden_block_count_y
      - .offset:         104
        .size:           4
        .value_kind:     hidden_block_count_z
      - .offset:         108
        .size:           2
        .value_kind:     hidden_group_size_x
      - .offset:         110
        .size:           2
        .value_kind:     hidden_group_size_y
      - .offset:         112
        .size:           2
        .value_kind:     hidden_group_size_z
      - .offset:         114
        .size:           2
        .value_kind:     hidden_remainder_x
      - .offset:         116
        .size:           2
        .value_kind:     hidden_remainder_y
      - .offset:         118
        .size:           2
        .value_kind:     hidden_remainder_z
      - .offset:         136
        .size:           8
        .value_kind:     hidden_global_offset_x
      - .offset:         144
        .size:           8
        .value_kind:     hidden_global_offset_y
      - .offset:         152
        .size:           8
        .value_kind:     hidden_global_offset_z
      - .offset:         160
        .size:           2
        .value_kind:     hidden_grid_dims
      - .offset:         216
        .size:           4
        .value_kind:     hidden_dynamic_lds_size
    .group_segment_fixed_size: 0
    .kernarg_segment_align: 8
    .kernarg_segment_size: 352
    .language:       OpenCL C
    .language_version:
      - 2
      - 0
    .max_flat_workgroup_size: 512
    .name:           _ZN9rocsolver6v33100L26stedcx_mergePrepare_kernelIfEEviiPT_lS3_lS3_iilS3_S3_PiS2_
    .private_segment_fixed_size: 0
    .sgpr_count:     82
    .sgpr_spill_count: 0
    .symbol:         _ZN9rocsolver6v33100L26stedcx_mergePrepare_kernelIfEEviiPT_lS3_lS3_iilS3_S3_PiS2_.kd
    .uniform_work_group_size: 1
    .uses_dynamic_stack: false
    .vgpr_count:     32
    .vgpr_spill_count: 0
    .wavefront_size: 32
  - .args:
      - .offset:         0
        .size:           4
        .value_kind:     by_value
      - .offset:         4
        .size:           4
        .value_kind:     by_value
      - .address_space:  global
        .offset:         8
        .size:           8
        .value_kind:     global_buffer
      - .offset:         16
        .size:           8
        .value_kind:     by_value
      - .address_space:  global
        .offset:         24
        .size:           8
        .value_kind:     global_buffer
      - .offset:         32
        .size:           8
        .value_kind:     by_value
      - .address_space:  global
        .offset:         40
        .size:           8
        .value_kind:     global_buffer
      - .address_space:  global
        .offset:         48
        .size:           8
        .value_kind:     global_buffer
      - .address_space:  global
        .offset:         56
        .size:           8
        .value_kind:     global_buffer
      - .offset:         64
        .size:           4
        .value_kind:     by_value
      - .offset:         68
        .size:           4
        .value_kind:     by_value
      - .offset:         72
        .size:           4
        .value_kind:     by_value
      - .offset:         80
        .size:           4
        .value_kind:     hidden_block_count_x
      - .offset:         84
        .size:           4
        .value_kind:     hidden_block_count_y
      - .offset:         88
        .size:           4
        .value_kind:     hidden_block_count_z
      - .offset:         92
        .size:           2
        .value_kind:     hidden_group_size_x
      - .offset:         94
        .size:           2
        .value_kind:     hidden_group_size_y
      - .offset:         96
        .size:           2
        .value_kind:     hidden_group_size_z
      - .offset:         98
        .size:           2
        .value_kind:     hidden_remainder_x
      - .offset:         100
        .size:           2
        .value_kind:     hidden_remainder_y
      - .offset:         102
        .size:           2
        .value_kind:     hidden_remainder_z
      - .offset:         120
        .size:           8
        .value_kind:     hidden_global_offset_x
      - .offset:         128
        .size:           8
        .value_kind:     hidden_global_offset_y
      - .offset:         136
        .size:           8
        .value_kind:     hidden_global_offset_z
      - .offset:         144
        .size:           2
        .value_kind:     hidden_grid_dims
    .group_segment_fixed_size: 0
    .kernarg_segment_align: 8
    .kernarg_segment_size: 336
    .language:       OpenCL C
    .language_version:
      - 2
      - 0
    .max_flat_workgroup_size: 512
    .name:           _ZN9rocsolver6v33100L25stedcx_mergeValues_kernelIfEEviiPT_lS3_lS3_S3_PiS2_S2_S2_
    .private_segment_fixed_size: 0
    .sgpr_count:     107
    .sgpr_spill_count: 12
    .symbol:         _ZN9rocsolver6v33100L25stedcx_mergeValues_kernelIfEEviiPT_lS3_lS3_S3_PiS2_S2_S2_.kd
    .uniform_work_group_size: 1
    .uses_dynamic_stack: false
    .vgpr_count:     63
    .vgpr_spill_count: 0
    .wavefront_size: 32
  - .args:
      - .offset:         0
        .size:           4
        .value_kind:     by_value
      - .offset:         4
        .size:           4
        .value_kind:     by_value
      - .address_space:  global
        .offset:         8
        .size:           8
        .value_kind:     global_buffer
      - .offset:         16
        .size:           8
        .value_kind:     by_value
      - .address_space:  global
        .offset:         24
        .size:           8
        .value_kind:     global_buffer
      - .offset:         32
        .size:           8
        .value_kind:     by_value
      - .address_space:  global
        .offset:         40
        .size:           8
        .value_kind:     global_buffer
      - .offset:         48
        .size:           4
        .value_kind:     by_value
      - .offset:         52
        .size:           4
        .value_kind:     by_value
      - .offset:         56
        .size:           8
        .value_kind:     by_value
      - .address_space:  global
        .offset:         64
        .size:           8
        .value_kind:     global_buffer
      - .address_space:  global
        .offset:         72
        .size:           8
        .value_kind:     global_buffer
      - .address_space:  global
        .offset:         80
        .size:           8
        .value_kind:     global_buffer
      - .offset:         88
        .size:           4
        .value_kind:     hidden_block_count_x
      - .offset:         92
        .size:           4
        .value_kind:     hidden_block_count_y
      - .offset:         96
        .size:           4
        .value_kind:     hidden_block_count_z
      - .offset:         100
        .size:           2
        .value_kind:     hidden_group_size_x
      - .offset:         102
        .size:           2
        .value_kind:     hidden_group_size_y
      - .offset:         104
        .size:           2
        .value_kind:     hidden_group_size_z
      - .offset:         106
        .size:           2
        .value_kind:     hidden_remainder_x
      - .offset:         108
        .size:           2
        .value_kind:     hidden_remainder_y
      - .offset:         110
        .size:           2
        .value_kind:     hidden_remainder_z
      - .offset:         128
        .size:           8
        .value_kind:     hidden_global_offset_x
      - .offset:         136
        .size:           8
        .value_kind:     hidden_global_offset_y
      - .offset:         144
        .size:           8
        .value_kind:     hidden_global_offset_z
      - .offset:         152
        .size:           2
        .value_kind:     hidden_grid_dims
      - .offset:         208
        .size:           4
        .value_kind:     hidden_dynamic_lds_size
    .group_segment_fixed_size: 0
    .kernarg_segment_align: 8
    .kernarg_segment_size: 344
    .language:       OpenCL C
    .language_version:
      - 2
      - 0
    .max_flat_workgroup_size: 512
    .name:           _ZN9rocsolver6v33100L26stedcx_mergeVectors_kernelILb0EfEEviiPT0_lS3_lS3_iilS3_S3_Pi
    .private_segment_fixed_size: 0
    .sgpr_count:     68
    .sgpr_spill_count: 0
    .symbol:         _ZN9rocsolver6v33100L26stedcx_mergeVectors_kernelILb0EfEEviiPT0_lS3_lS3_iilS3_S3_Pi.kd
    .uniform_work_group_size: 1
    .uses_dynamic_stack: false
    .vgpr_count:     23
    .vgpr_spill_count: 0
    .wavefront_size: 32
  - .args:
      - .offset:         0
        .size:           4
        .value_kind:     by_value
      - .offset:         4
        .size:           4
        .value_kind:     by_value
      - .address_space:  global
        .offset:         8
        .size:           8
        .value_kind:     global_buffer
      - .offset:         16
        .size:           8
        .value_kind:     by_value
      - .address_space:  global
        .offset:         24
        .size:           8
        .value_kind:     global_buffer
      - .offset:         32
        .size:           4
        .value_kind:     by_value
      - .offset:         36
        .size:           4
        .value_kind:     by_value
      - .offset:         40
        .size:           8
        .value_kind:     by_value
      - .address_space:  global
        .offset:         48
        .size:           8
        .value_kind:     global_buffer
      - .address_space:  global
        .offset:         56
        .size:           8
        .value_kind:     global_buffer
      - .address_space:  global
        .offset:         64
        .size:           8
        .value_kind:     global_buffer
      - .offset:         72
        .size:           4
        .value_kind:     hidden_block_count_x
      - .offset:         76
        .size:           4
        .value_kind:     hidden_block_count_y
      - .offset:         80
        .size:           4
        .value_kind:     hidden_block_count_z
      - .offset:         84
        .size:           2
        .value_kind:     hidden_group_size_x
      - .offset:         86
        .size:           2
        .value_kind:     hidden_group_size_y
      - .offset:         88
        .size:           2
        .value_kind:     hidden_group_size_z
      - .offset:         90
        .size:           2
        .value_kind:     hidden_remainder_x
      - .offset:         92
        .size:           2
        .value_kind:     hidden_remainder_y
      - .offset:         94
        .size:           2
        .value_kind:     hidden_remainder_z
      - .offset:         112
        .size:           8
        .value_kind:     hidden_global_offset_x
      - .offset:         120
        .size:           8
        .value_kind:     hidden_global_offset_y
      - .offset:         128
        .size:           8
        .value_kind:     hidden_global_offset_z
      - .offset:         136
        .size:           2
        .value_kind:     hidden_grid_dims
    .group_segment_fixed_size: 0
    .kernarg_segment_align: 8
    .kernarg_segment_size: 328
    .language:       OpenCL C
    .language_version:
      - 2
      - 0
    .max_flat_workgroup_size: 512
    .name:           _ZN9rocsolver6v33100L25stedcx_mergeUpdate_kernelIfEEviiPT_lS3_iilS3_S3_Pi
    .private_segment_fixed_size: 0
    .sgpr_count:     52
    .sgpr_spill_count: 0
    .symbol:         _ZN9rocsolver6v33100L25stedcx_mergeUpdate_kernelIfEEviiPT_lS3_iilS3_S3_Pi.kd
    .uniform_work_group_size: 1
    .uses_dynamic_stack: false
    .vgpr_count:     14
    .vgpr_spill_count: 0
    .wavefront_size: 32
  - .args:
      - .offset:         0
        .size:           4
        .value_kind:     by_value
      - .offset:         4
        .size:           4
        .value_kind:     by_value
      - .offset:         8
        .size:           4
        .value_kind:     by_value
      - .offset:         12
        .size:           4
        .value_kind:     by_value
      - .address_space:  global
        .offset:         16
        .size:           8
        .value_kind:     global_buffer
      - .offset:         24
        .size:           8
        .value_kind:     by_value
      - .address_space:  global
        .offset:         32
        .size:           8
        .value_kind:     global_buffer
      - .address_space:  global
        .offset:         40
        .size:           8
        .value_kind:     global_buffer
      - .offset:         48
        .size:           8
        .value_kind:     by_value
      - .address_space:  global
        .offset:         56
        .size:           8
        .value_kind:     global_buffer
      - .offset:         64
        .size:           4
        .value_kind:     by_value
      - .offset:         72
        .size:           8
        .value_kind:     by_value
      - .offset:         80
        .size:           4
        .value_kind:     by_value
      - .address_space:  global
        .offset:         88
        .size:           8
        .value_kind:     global_buffer
      - .address_space:  global
        .offset:         96
        .size:           8
        .value_kind:     global_buffer
      - .offset:         104
        .size:           4
        .value_kind:     by_value
      - .offset:         112
        .size:           4
        .value_kind:     hidden_block_count_x
      - .offset:         116
        .size:           4
        .value_kind:     hidden_block_count_y
      - .offset:         120
        .size:           4
        .value_kind:     hidden_block_count_z
      - .offset:         124
        .size:           2
        .value_kind:     hidden_group_size_x
      - .offset:         126
        .size:           2
        .value_kind:     hidden_group_size_y
      - .offset:         128
        .size:           2
        .value_kind:     hidden_group_size_z
      - .offset:         130
        .size:           2
        .value_kind:     hidden_remainder_x
      - .offset:         132
        .size:           2
        .value_kind:     hidden_remainder_y
      - .offset:         134
        .size:           2
        .value_kind:     hidden_remainder_z
      - .offset:         152
        .size:           8
        .value_kind:     hidden_global_offset_x
      - .offset:         160
        .size:           8
        .value_kind:     hidden_global_offset_y
      - .offset:         168
        .size:           8
        .value_kind:     hidden_global_offset_z
      - .offset:         176
        .size:           2
        .value_kind:     hidden_grid_dims
    .group_segment_fixed_size: 0
    .kernarg_segment_align: 8
    .kernarg_segment_size: 368
    .language:       OpenCL C
    .language_version:
      - 2
      - 0
    .max_flat_workgroup_size: 512
    .name:           _ZN9rocsolver6v33100L23stedcx_synthesis_kernelIfEEv15rocblas_erange_iiiPT_lPiS4_lS4_iliS5_S4_S3_
    .private_segment_fixed_size: 0
    .sgpr_count:     52
    .sgpr_spill_count: 0
    .symbol:         _ZN9rocsolver6v33100L23stedcx_synthesis_kernelIfEEv15rocblas_erange_iiiPT_lPiS4_lS4_iliS5_S4_S3_.kd
    .uniform_work_group_size: 1
    .uses_dynamic_stack: false
    .vgpr_count:     15
    .vgpr_spill_count: 0
    .wavefront_size: 32
  - .args:
      - .offset:         0
        .size:           4
        .value_kind:     by_value
      - .offset:         4
        .size:           4
        .value_kind:     by_value
      - .offset:         8
        .size:           4
        .value_kind:     by_value
      - .address_space:  global
        .offset:         16
        .size:           8
        .value_kind:     global_buffer
      - .offset:         24
        .size:           4
        .value_kind:     by_value
      - .offset:         28
        .size:           4
        .value_kind:     by_value
      - .offset:         32
        .size:           8
        .value_kind:     by_value
      - .address_space:  global
        .offset:         40
        .size:           8
        .value_kind:     global_buffer
      - .offset:         48
        .size:           1
        .value_kind:     by_value
      - .offset:         52
        .size:           4
        .value_kind:     by_value
      - .offset:         56
        .size:           4
        .value_kind:     by_value
      - .offset:         64
        .size:           4
        .value_kind:     hidden_block_count_x
      - .offset:         68
        .size:           4
        .value_kind:     hidden_block_count_y
      - .offset:         72
        .size:           4
        .value_kind:     hidden_block_count_z
      - .offset:         76
        .size:           2
        .value_kind:     hidden_group_size_x
      - .offset:         78
        .size:           2
        .value_kind:     hidden_group_size_y
      - .offset:         80
        .size:           2
        .value_kind:     hidden_group_size_z
      - .offset:         82
        .size:           2
        .value_kind:     hidden_remainder_x
      - .offset:         84
        .size:           2
        .value_kind:     hidden_remainder_y
      - .offset:         86
        .size:           2
        .value_kind:     hidden_remainder_z
      - .offset:         104
        .size:           8
        .value_kind:     hidden_global_offset_x
      - .offset:         112
        .size:           8
        .value_kind:     hidden_global_offset_y
      - .offset:         120
        .size:           8
        .value_kind:     hidden_global_offset_z
      - .offset:         128
        .size:           2
        .value_kind:     hidden_grid_dims
    .group_segment_fixed_size: 0
    .kernarg_segment_align: 8
    .kernarg_segment_size: 320
    .language:       OpenCL C
    .language_version:
      - 2
      - 0
    .max_flat_workgroup_size: 1024
    .name:           _ZN9rocsolver6v33100L8copy_matIfPfNS0_7no_maskEEEvNS0_17copymat_directionEiiT0_iilPT_T1_13rocblas_fill_17rocblas_diagonal_
    .private_segment_fixed_size: 0
    .sgpr_count:     20
    .sgpr_spill_count: 0
    .symbol:         _ZN9rocsolver6v33100L8copy_matIfPfNS0_7no_maskEEEvNS0_17copymat_directionEiiT0_iilPT_T1_13rocblas_fill_17rocblas_diagonal_.kd
    .uniform_work_group_size: 1
    .uses_dynamic_stack: false
    .vgpr_count:     3
    .vgpr_spill_count: 0
    .wavefront_size: 32
  - .args:
      - .offset:         0
        .size:           4
        .value_kind:     by_value
      - .address_space:  global
        .offset:         8
        .size:           8
        .value_kind:     global_buffer
      - .offset:         16
        .size:           8
        .value_kind:     by_value
      - .address_space:  global
        .offset:         24
        .size:           8
        .value_kind:     global_buffer
      - .offset:         32
        .size:           4
        .value_kind:     by_value
      - .offset:         36
        .size:           4
        .value_kind:     by_value
      - .offset:         40
        .size:           8
        .value_kind:     by_value
      - .offset:         48
        .size:           4
        .value_kind:     by_value
      - .address_space:  global
        .offset:         56
        .size:           8
        .value_kind:     global_buffer
      - .address_space:  global
        .offset:         64
        .size:           8
        .value_kind:     global_buffer
      - .offset:         72
        .size:           4
        .value_kind:     hidden_block_count_x
      - .offset:         76
        .size:           4
        .value_kind:     hidden_block_count_y
      - .offset:         80
        .size:           4
        .value_kind:     hidden_block_count_z
      - .offset:         84
        .size:           2
        .value_kind:     hidden_group_size_x
      - .offset:         86
        .size:           2
        .value_kind:     hidden_group_size_y
      - .offset:         88
        .size:           2
        .value_kind:     hidden_group_size_z
      - .offset:         90
        .size:           2
        .value_kind:     hidden_remainder_x
      - .offset:         92
        .size:           2
        .value_kind:     hidden_remainder_y
      - .offset:         94
        .size:           2
        .value_kind:     hidden_remainder_z
      - .offset:         112
        .size:           8
        .value_kind:     hidden_global_offset_x
      - .offset:         120
        .size:           8
        .value_kind:     hidden_global_offset_y
      - .offset:         128
        .size:           8
        .value_kind:     hidden_global_offset_z
      - .offset:         136
        .size:           2
        .value_kind:     hidden_grid_dims
      - .offset:         152
        .size:           8
        .value_kind:     hidden_hostcall_buffer
    .group_segment_fixed_size: 0
    .kernarg_segment_align: 8
    .kernarg_segment_size: 328
    .language:       OpenCL C
    .language_version:
      - 2
      - 0
    .max_flat_workgroup_size: 256
    .name:           _ZN9rocsolver6v33100L11stedcx_sortIffPfEEviPT0_lT1_iiliPiS6_
    .private_segment_fixed_size: 64
    .sgpr_count:     56
    .sgpr_spill_count: 0
    .symbol:         _ZN9rocsolver6v33100L11stedcx_sortIffPfEEviPT0_lT1_iiliPiS6_.kd
    .uniform_work_group_size: 1
    .uses_dynamic_stack: false
    .vgpr_count:     53
    .vgpr_spill_count: 0
    .wavefront_size: 32
  - .args:
      - .address_space:  global
        .offset:         0
        .size:           8
        .value_kind:     global_buffer
      - .offset:         8
        .size:           8
        .value_kind:     by_value
      - .offset:         16
        .size:           4
        .value_kind:     by_value
      - .offset:         20
        .size:           4
        .value_kind:     by_value
      - .offset:         24
        .size:           4
        .value_kind:     hidden_block_count_x
      - .offset:         28
        .size:           4
        .value_kind:     hidden_block_count_y
      - .offset:         32
        .size:           4
        .value_kind:     hidden_block_count_z
      - .offset:         36
        .size:           2
        .value_kind:     hidden_group_size_x
      - .offset:         38
        .size:           2
        .value_kind:     hidden_group_size_y
      - .offset:         40
        .size:           2
        .value_kind:     hidden_group_size_z
      - .offset:         42
        .size:           2
        .value_kind:     hidden_remainder_x
      - .offset:         44
        .size:           2
        .value_kind:     hidden_remainder_y
      - .offset:         46
        .size:           2
        .value_kind:     hidden_remainder_z
      - .offset:         64
        .size:           8
        .value_kind:     hidden_global_offset_x
      - .offset:         72
        .size:           8
        .value_kind:     hidden_global_offset_y
      - .offset:         80
        .size:           8
        .value_kind:     hidden_global_offset_z
      - .offset:         88
        .size:           2
        .value_kind:     hidden_grid_dims
    .group_segment_fixed_size: 0
    .kernarg_segment_align: 8
    .kernarg_segment_size: 280
    .language:       OpenCL C
    .language_version:
      - 2
      - 0
    .max_flat_workgroup_size: 1024
    .name:           _ZN9rocsolver6v33100L16reset_batch_infoIdiiPdEEvT2_lT0_T1_
    .private_segment_fixed_size: 0
    .sgpr_count:     10
    .sgpr_spill_count: 0
    .symbol:         _ZN9rocsolver6v33100L16reset_batch_infoIdiiPdEEvT2_lT0_T1_.kd
    .uniform_work_group_size: 1
    .uses_dynamic_stack: false
    .vgpr_count:     4
    .vgpr_spill_count: 0
    .wavefront_size: 32
  - .args:
      - .offset:         0
        .size:           4
        .value_kind:     by_value
      - .offset:         8
        .size:           8
        .value_kind:     by_value
      - .offset:         16
        .size:           8
        .value_kind:     by_value
      - .address_space:  global
        .offset:         24
        .size:           8
        .value_kind:     global_buffer
      - .offset:         32
        .size:           8
        .value_kind:     by_value
      - .address_space:  global
        .offset:         40
        .size:           8
        .value_kind:     global_buffer
      - .address_space:  global
        .offset:         48
        .size:           8
        .value_kind:     global_buffer
      - .offset:         56
        .size:           8
        .value_kind:     by_value
    .group_segment_fixed_size: 0
    .kernarg_segment_align: 8
    .kernarg_segment_size: 64
    .language:       OpenCL C
    .language_version:
      - 2
      - 0
    .max_flat_workgroup_size: 1024
    .name:           _ZN9rocsolver6v33100L19stedcx_case1_kernelIdEEv15rocblas_erange_T_S3_PS3_lPiS4_l
    .private_segment_fixed_size: 0
    .sgpr_count:     21
    .sgpr_spill_count: 0
    .symbol:         _ZN9rocsolver6v33100L19stedcx_case1_kernelIdEEv15rocblas_erange_T_S3_PS3_lPiS4_l.kd
    .uniform_work_group_size: 1
    .uses_dynamic_stack: false
    .vgpr_count:     4
    .vgpr_spill_count: 0
    .wavefront_size: 32
  - .args:
      - .offset:         0
        .size:           4
        .value_kind:     by_value
      - .offset:         4
        .size:           4
        .value_kind:     by_value
      - .address_space:  global
        .offset:         8
        .size:           8
        .value_kind:     global_buffer
      - .offset:         16
        .size:           4
        .value_kind:     by_value
      - .offset:         20
        .size:           4
        .value_kind:     by_value
      - .offset:         24
        .size:           8
        .value_kind:     by_value
      - .offset:         32
        .size:           4
        .value_kind:     hidden_block_count_x
      - .offset:         36
        .size:           4
        .value_kind:     hidden_block_count_y
      - .offset:         40
        .size:           4
        .value_kind:     hidden_block_count_z
      - .offset:         44
        .size:           2
        .value_kind:     hidden_group_size_x
      - .offset:         46
        .size:           2
        .value_kind:     hidden_group_size_y
      - .offset:         48
        .size:           2
        .value_kind:     hidden_group_size_z
      - .offset:         50
        .size:           2
        .value_kind:     hidden_remainder_x
      - .offset:         52
        .size:           2
        .value_kind:     hidden_remainder_y
      - .offset:         54
        .size:           2
        .value_kind:     hidden_remainder_z
      - .offset:         72
        .size:           8
        .value_kind:     hidden_global_offset_x
      - .offset:         80
        .size:           8
        .value_kind:     hidden_global_offset_y
      - .offset:         88
        .size:           8
        .value_kind:     hidden_global_offset_z
      - .offset:         96
        .size:           2
        .value_kind:     hidden_grid_dims
    .group_segment_fixed_size: 0
    .kernarg_segment_align: 8
    .kernarg_segment_size: 288
    .language:       OpenCL C
    .language_version:
      - 2
      - 0
    .max_flat_workgroup_size: 1024
    .name:           _ZN9rocsolver6v33100L10init_identIdPdEEviiT0_iil
    .private_segment_fixed_size: 0
    .sgpr_count:     13
    .sgpr_spill_count: 0
    .symbol:         _ZN9rocsolver6v33100L10init_identIdPdEEviiT0_iil.kd
    .uniform_work_group_size: 1
    .uses_dynamic_stack: false
    .vgpr_count:     4
    .vgpr_spill_count: 0
    .wavefront_size: 32
  - .args:
      - .offset:         0
        .size:           4
        .value_kind:     by_value
      - .offset:         4
        .size:           4
        .value_kind:     by_value
      - .offset:         8
        .size:           8
        .value_kind:     by_value
      - .offset:         16
        .size:           8
        .value_kind:     by_value
      - .offset:         24
        .size:           4
        .value_kind:     by_value
      - .offset:         28
        .size:           4
        .value_kind:     by_value
      - .address_space:  global
        .offset:         32
        .size:           8
        .value_kind:     global_buffer
      - .offset:         40
        .size:           8
        .value_kind:     by_value
      - .address_space:  global
        .offset:         48
        .size:           8
        .value_kind:     global_buffer
      - .offset:         56
        .size:           8
        .value_kind:     by_value
      - .address_space:  global
        .offset:         64
        .size:           8
        .value_kind:     global_buffer
      - .offset:         72
        .size:           8
        .value_kind:     by_value
      - .address_space:  global
        .offset:         80
        .size:           8
        .value_kind:     global_buffer
      - .address_space:  global
        .offset:         88
        .size:           8
        .value_kind:     global_buffer
      - .offset:         96
        .size:           8
        .value_kind:     by_value
      - .offset:         104
        .size:           8
        .value_kind:     by_value
      - .offset:         112
        .size:           4
        .value_kind:     hidden_block_count_x
      - .offset:         116
        .size:           4
        .value_kind:     hidden_block_count_y
      - .offset:         120
        .size:           4
        .value_kind:     hidden_block_count_z
      - .offset:         124
        .size:           2
        .value_kind:     hidden_group_size_x
      - .offset:         126
        .size:           2
        .value_kind:     hidden_group_size_y
      - .offset:         128
        .size:           2
        .value_kind:     hidden_group_size_z
      - .offset:         130
        .size:           2
        .value_kind:     hidden_remainder_x
      - .offset:         132
        .size:           2
        .value_kind:     hidden_remainder_y
      - .offset:         134
        .size:           2
        .value_kind:     hidden_remainder_z
      - .offset:         152
        .size:           8
        .value_kind:     hidden_global_offset_x
      - .offset:         160
        .size:           8
        .value_kind:     hidden_global_offset_y
      - .offset:         168
        .size:           8
        .value_kind:     hidden_global_offset_z
      - .offset:         176
        .size:           2
        .value_kind:     hidden_grid_dims
    .group_segment_fixed_size: 3072
    .kernarg_segment_align: 8
    .kernarg_segment_size: 368
    .language:       OpenCL C
    .language_version:
      - 2
      - 0
    .max_flat_workgroup_size: 256
    .name:           _ZN9rocsolver6v33100L19stedcx_split_kernelIdEEv15rocblas_erange_iT_S3_iiPS3_lS4_lS4_lPiS4_S3_S3_
    .private_segment_fixed_size: 0
    .sgpr_count:     58
    .sgpr_spill_count: 0
    .symbol:         _ZN9rocsolver6v33100L19stedcx_split_kernelIdEEv15rocblas_erange_iT_S3_iiPS3_lS4_lS4_lPiS4_S3_S3_.kd
    .uniform_work_group_size: 1
    .uses_dynamic_stack: false
    .vgpr_count:     33
    .vgpr_spill_count: 0
    .wavefront_size: 32
  - .args:
      - .offset:         0
        .size:           4
        .value_kind:     by_value
      - .address_space:  global
        .offset:         8
        .size:           8
        .value_kind:     global_buffer
      - .offset:         16
        .size:           8
        .value_kind:     by_value
      - .address_space:  global
        .offset:         24
        .size:           8
        .value_kind:     global_buffer
      - .offset:         32
        .size:           8
        .value_kind:     by_value
      - .address_space:  global
        .offset:         40
        .size:           8
        .value_kind:     global_buffer
    .group_segment_fixed_size: 0
    .kernarg_segment_align: 8
    .kernarg_segment_size: 48
    .language:       OpenCL C
    .language_version:
      - 2
      - 0
    .max_flat_workgroup_size: 512
    .name:           _ZN9rocsolver6v33100L20stedcx_divide_kernelIdEEviPT_lS3_lPi
    .private_segment_fixed_size: 0
    .sgpr_count:     30
    .sgpr_spill_count: 0
    .symbol:         _ZN9rocsolver6v33100L20stedcx_divide_kernelIdEEviPT_lS3_lPi.kd
    .uniform_work_group_size: 1
    .uses_dynamic_stack: false
    .vgpr_count:     20
    .vgpr_spill_count: 0
    .wavefront_size: 32
  - .args:
      - .offset:         0
        .size:           4
        .value_kind:     by_value
      - .address_space:  global
        .offset:         8
        .size:           8
        .value_kind:     global_buffer
      - .offset:         16
        .size:           8
        .value_kind:     by_value
      - .address_space:  global
        .offset:         24
        .size:           8
        .value_kind:     global_buffer
      - .offset:         32
        .size:           8
        .value_kind:     by_value
      - .address_space:  global
        .offset:         40
        .size:           8
        .value_kind:     global_buffer
      - .offset:         48
        .size:           4
        .value_kind:     by_value
      - .offset:         52
        .size:           4
        .value_kind:     by_value
      - .offset:         56
        .size:           8
        .value_kind:     by_value
      - .address_space:  global
        .offset:         64
        .size:           8
        .value_kind:     global_buffer
      - .address_space:  global
        .offset:         72
        .size:           8
        .value_kind:     global_buffer
      - .address_space:  global
        .offset:         80
        .size:           8
        .value_kind:     global_buffer
      - .offset:         88
        .size:           8
        .value_kind:     by_value
      - .offset:         96
        .size:           8
        .value_kind:     by_value
      - .offset:         104
        .size:           8
        .value_kind:     by_value
      - .offset:         112
        .size:           4
        .value_kind:     hidden_block_count_x
      - .offset:         116
        .size:           4
        .value_kind:     hidden_block_count_y
      - .offset:         120
        .size:           4
        .value_kind:     hidden_block_count_z
      - .offset:         124
        .size:           2
        .value_kind:     hidden_group_size_x
      - .offset:         126
        .size:           2
        .value_kind:     hidden_group_size_y
      - .offset:         128
        .size:           2
        .value_kind:     hidden_group_size_z
      - .offset:         130
        .size:           2
        .value_kind:     hidden_remainder_x
      - .offset:         132
        .size:           2
        .value_kind:     hidden_remainder_y
      - .offset:         134
        .size:           2
        .value_kind:     hidden_remainder_z
      - .offset:         152
        .size:           8
        .value_kind:     hidden_global_offset_x
      - .offset:         160
        .size:           8
        .value_kind:     hidden_global_offset_y
      - .offset:         168
        .size:           8
        .value_kind:     hidden_global_offset_z
      - .offset:         176
        .size:           2
        .value_kind:     hidden_grid_dims
    .group_segment_fixed_size: 48
    .kernarg_segment_align: 8
    .kernarg_segment_size: 368
    .language:       OpenCL C
    .language_version:
      - 2
      - 0
    .max_flat_workgroup_size: 512
    .name:           _ZN9rocsolver6v33100L19stedcx_solve_kernelIdEEviPT_lS3_lS3_iilPiS3_S4_S2_S2_S2_
    .private_segment_fixed_size: 0
    .sgpr_count:     107
    .sgpr_spill_count: 0
    .symbol:         _ZN9rocsolver6v33100L19stedcx_solve_kernelIdEEviPT_lS3_lS3_iilPiS3_S4_S2_S2_S2_.kd
    .uniform_work_group_size: 1
    .uses_dynamic_stack: false
    .vgpr_count:     76
    .vgpr_spill_count: 0
    .wavefront_size: 32
  - .args:
      - .offset:         0
        .size:           4
        .value_kind:     by_value
      - .offset:         4
        .size:           4
        .value_kind:     by_value
      - .address_space:  global
        .offset:         8
        .size:           8
        .value_kind:     global_buffer
      - .offset:         16
        .size:           8
        .value_kind:     by_value
      - .address_space:  global
        .offset:         24
        .size:           8
        .value_kind:     global_buffer
      - .offset:         32
        .size:           8
        .value_kind:     by_value
      - .address_space:  global
        .offset:         40
        .size:           8
        .value_kind:     global_buffer
      - .offset:         48
        .size:           4
        .value_kind:     by_value
      - .offset:         52
        .size:           4
        .value_kind:     by_value
      - .offset:         56
        .size:           8
        .value_kind:     by_value
      - .address_space:  global
        .offset:         64
        .size:           8
        .value_kind:     global_buffer
      - .address_space:  global
        .offset:         72
        .size:           8
        .value_kind:     global_buffer
      - .address_space:  global
        .offset:         80
        .size:           8
        .value_kind:     global_buffer
      - .offset:         88
        .size:           8
        .value_kind:     by_value
      - .offset:         96
        .size:           4
        .value_kind:     hidden_block_count_x
      - .offset:         100
        .size:           4
        .value_kind:     hidden_block_count_y
      - .offset:         104
        .size:           4
        .value_kind:     hidden_block_count_z
      - .offset:         108
        .size:           2
        .value_kind:     hidden_group_size_x
      - .offset:         110
        .size:           2
        .value_kind:     hidden_group_size_y
      - .offset:         112
        .size:           2
        .value_kind:     hidden_group_size_z
      - .offset:         114
        .size:           2
        .value_kind:     hidden_remainder_x
      - .offset:         116
        .size:           2
        .value_kind:     hidden_remainder_y
      - .offset:         118
        .size:           2
        .value_kind:     hidden_remainder_z
      - .offset:         136
        .size:           8
        .value_kind:     hidden_global_offset_x
      - .offset:         144
        .size:           8
        .value_kind:     hidden_global_offset_y
      - .offset:         152
        .size:           8
        .value_kind:     hidden_global_offset_z
      - .offset:         160
        .size:           2
        .value_kind:     hidden_grid_dims
      - .offset:         216
        .size:           4
        .value_kind:     hidden_dynamic_lds_size
    .group_segment_fixed_size: 0
    .kernarg_segment_align: 8
    .kernarg_segment_size: 352
    .language:       OpenCL C
    .language_version:
      - 2
      - 0
    .max_flat_workgroup_size: 512
    .name:           _ZN9rocsolver6v33100L26stedcx_mergePrepare_kernelIdEEviiPT_lS3_lS3_iilS3_S3_PiS2_
    .private_segment_fixed_size: 0
    .sgpr_count:     80
    .sgpr_spill_count: 0
    .symbol:         _ZN9rocsolver6v33100L26stedcx_mergePrepare_kernelIdEEviiPT_lS3_lS3_iilS3_S3_PiS2_.kd
    .uniform_work_group_size: 1
    .uses_dynamic_stack: false
    .vgpr_count:     42
    .vgpr_spill_count: 0
    .wavefront_size: 32
  - .args:
      - .offset:         0
        .size:           4
        .value_kind:     by_value
      - .offset:         4
        .size:           4
        .value_kind:     by_value
      - .address_space:  global
        .offset:         8
        .size:           8
        .value_kind:     global_buffer
      - .offset:         16
        .size:           8
        .value_kind:     by_value
      - .address_space:  global
        .offset:         24
        .size:           8
        .value_kind:     global_buffer
      - .offset:         32
        .size:           8
        .value_kind:     by_value
      - .address_space:  global
        .offset:         40
        .size:           8
        .value_kind:     global_buffer
      - .address_space:  global
        .offset:         48
        .size:           8
        .value_kind:     global_buffer
      - .address_space:  global
        .offset:         56
        .size:           8
        .value_kind:     global_buffer
      - .offset:         64
        .size:           8
        .value_kind:     by_value
      - .offset:         72
        .size:           8
        .value_kind:     by_value
      - .offset:         80
        .size:           8
        .value_kind:     by_value
      - .offset:         88
        .size:           4
        .value_kind:     hidden_block_count_x
      - .offset:         92
        .size:           4
        .value_kind:     hidden_block_count_y
      - .offset:         96
        .size:           4
        .value_kind:     hidden_block_count_z
      - .offset:         100
        .size:           2
        .value_kind:     hidden_group_size_x
      - .offset:         102
        .size:           2
        .value_kind:     hidden_group_size_y
      - .offset:         104
        .size:           2
        .value_kind:     hidden_group_size_z
      - .offset:         106
        .size:           2
        .value_kind:     hidden_remainder_x
      - .offset:         108
        .size:           2
        .value_kind:     hidden_remainder_y
      - .offset:         110
        .size:           2
        .value_kind:     hidden_remainder_z
      - .offset:         128
        .size:           8
        .value_kind:     hidden_global_offset_x
      - .offset:         136
        .size:           8
        .value_kind:     hidden_global_offset_y
      - .offset:         144
        .size:           8
        .value_kind:     hidden_global_offset_z
      - .offset:         152
        .size:           2
        .value_kind:     hidden_grid_dims
    .group_segment_fixed_size: 0
    .kernarg_segment_align: 8
    .kernarg_segment_size: 344
    .language:       OpenCL C
    .language_version:
      - 2
      - 0
    .max_flat_workgroup_size: 512
    .name:           _ZN9rocsolver6v33100L25stedcx_mergeValues_kernelIdEEviiPT_lS3_lS3_S3_PiS2_S2_S2_
    .private_segment_fixed_size: 0
    .sgpr_count:     107
    .sgpr_spill_count: 7
    .symbol:         _ZN9rocsolver6v33100L25stedcx_mergeValues_kernelIdEEviiPT_lS3_lS3_S3_PiS2_S2_S2_.kd
    .uniform_work_group_size: 1
    .uses_dynamic_stack: false
    .vgpr_count:     84
    .vgpr_spill_count: 0
    .wavefront_size: 32
  - .args:
      - .offset:         0
        .size:           4
        .value_kind:     by_value
      - .offset:         4
        .size:           4
        .value_kind:     by_value
      - .address_space:  global
        .offset:         8
        .size:           8
        .value_kind:     global_buffer
      - .offset:         16
        .size:           8
        .value_kind:     by_value
      - .address_space:  global
        .offset:         24
        .size:           8
        .value_kind:     global_buffer
      - .offset:         32
        .size:           8
        .value_kind:     by_value
      - .address_space:  global
        .offset:         40
        .size:           8
        .value_kind:     global_buffer
      - .offset:         48
        .size:           4
        .value_kind:     by_value
      - .offset:         52
        .size:           4
        .value_kind:     by_value
      - .offset:         56
        .size:           8
        .value_kind:     by_value
      - .address_space:  global
        .offset:         64
        .size:           8
        .value_kind:     global_buffer
      - .address_space:  global
        .offset:         72
        .size:           8
        .value_kind:     global_buffer
      - .address_space:  global
        .offset:         80
        .size:           8
        .value_kind:     global_buffer
      - .offset:         88
        .size:           4
        .value_kind:     hidden_block_count_x
      - .offset:         92
        .size:           4
        .value_kind:     hidden_block_count_y
      - .offset:         96
        .size:           4
        .value_kind:     hidden_block_count_z
      - .offset:         100
        .size:           2
        .value_kind:     hidden_group_size_x
      - .offset:         102
        .size:           2
        .value_kind:     hidden_group_size_y
      - .offset:         104
        .size:           2
        .value_kind:     hidden_group_size_z
      - .offset:         106
        .size:           2
        .value_kind:     hidden_remainder_x
      - .offset:         108
        .size:           2
        .value_kind:     hidden_remainder_y
      - .offset:         110
        .size:           2
        .value_kind:     hidden_remainder_z
      - .offset:         128
        .size:           8
        .value_kind:     hidden_global_offset_x
      - .offset:         136
        .size:           8
        .value_kind:     hidden_global_offset_y
      - .offset:         144
        .size:           8
        .value_kind:     hidden_global_offset_z
      - .offset:         152
        .size:           2
        .value_kind:     hidden_grid_dims
      - .offset:         208
        .size:           4
        .value_kind:     hidden_dynamic_lds_size
    .group_segment_fixed_size: 0
    .kernarg_segment_align: 8
    .kernarg_segment_size: 344
    .language:       OpenCL C
    .language_version:
      - 2
      - 0
    .max_flat_workgroup_size: 512
    .name:           _ZN9rocsolver6v33100L26stedcx_mergeVectors_kernelILb0EdEEviiPT0_lS3_lS3_iilS3_S3_Pi
    .private_segment_fixed_size: 0
    .sgpr_count:     70
    .sgpr_spill_count: 0
    .symbol:         _ZN9rocsolver6v33100L26stedcx_mergeVectors_kernelILb0EdEEviiPT0_lS3_lS3_iilS3_S3_Pi.kd
    .uniform_work_group_size: 1
    .uses_dynamic_stack: false
    .vgpr_count:     30
    .vgpr_spill_count: 0
    .wavefront_size: 32
  - .args:
      - .offset:         0
        .size:           4
        .value_kind:     by_value
      - .offset:         4
        .size:           4
        .value_kind:     by_value
      - .address_space:  global
        .offset:         8
        .size:           8
        .value_kind:     global_buffer
      - .offset:         16
        .size:           8
        .value_kind:     by_value
      - .address_space:  global
        .offset:         24
        .size:           8
        .value_kind:     global_buffer
      - .offset:         32
        .size:           4
        .value_kind:     by_value
      - .offset:         36
        .size:           4
        .value_kind:     by_value
      - .offset:         40
        .size:           8
        .value_kind:     by_value
      - .address_space:  global
        .offset:         48
        .size:           8
        .value_kind:     global_buffer
      - .address_space:  global
        .offset:         56
        .size:           8
        .value_kind:     global_buffer
      - .address_space:  global
        .offset:         64
        .size:           8
        .value_kind:     global_buffer
      - .offset:         72
        .size:           4
        .value_kind:     hidden_block_count_x
      - .offset:         76
        .size:           4
        .value_kind:     hidden_block_count_y
      - .offset:         80
        .size:           4
        .value_kind:     hidden_block_count_z
      - .offset:         84
        .size:           2
        .value_kind:     hidden_group_size_x
      - .offset:         86
        .size:           2
        .value_kind:     hidden_group_size_y
      - .offset:         88
        .size:           2
        .value_kind:     hidden_group_size_z
      - .offset:         90
        .size:           2
        .value_kind:     hidden_remainder_x
      - .offset:         92
        .size:           2
        .value_kind:     hidden_remainder_y
      - .offset:         94
        .size:           2
        .value_kind:     hidden_remainder_z
      - .offset:         112
        .size:           8
        .value_kind:     hidden_global_offset_x
      - .offset:         120
        .size:           8
        .value_kind:     hidden_global_offset_y
      - .offset:         128
        .size:           8
        .value_kind:     hidden_global_offset_z
      - .offset:         136
        .size:           2
        .value_kind:     hidden_grid_dims
    .group_segment_fixed_size: 0
    .kernarg_segment_align: 8
    .kernarg_segment_size: 328
    .language:       OpenCL C
    .language_version:
      - 2
      - 0
    .max_flat_workgroup_size: 512
    .name:           _ZN9rocsolver6v33100L25stedcx_mergeUpdate_kernelIdEEviiPT_lS3_iilS3_S3_Pi
    .private_segment_fixed_size: 0
    .sgpr_count:     52
    .sgpr_spill_count: 0
    .symbol:         _ZN9rocsolver6v33100L25stedcx_mergeUpdate_kernelIdEEviiPT_lS3_iilS3_S3_Pi.kd
    .uniform_work_group_size: 1
    .uses_dynamic_stack: false
    .vgpr_count:     14
    .vgpr_spill_count: 0
    .wavefront_size: 32
  - .args:
      - .offset:         0
        .size:           4
        .value_kind:     by_value
      - .offset:         4
        .size:           4
        .value_kind:     by_value
      - .offset:         8
        .size:           4
        .value_kind:     by_value
      - .offset:         12
        .size:           4
        .value_kind:     by_value
      - .address_space:  global
        .offset:         16
        .size:           8
        .value_kind:     global_buffer
      - .offset:         24
        .size:           8
        .value_kind:     by_value
      - .address_space:  global
        .offset:         32
        .size:           8
        .value_kind:     global_buffer
      - .address_space:  global
        .offset:         40
        .size:           8
        .value_kind:     global_buffer
      - .offset:         48
        .size:           8
        .value_kind:     by_value
      - .address_space:  global
        .offset:         56
        .size:           8
        .value_kind:     global_buffer
      - .offset:         64
        .size:           4
        .value_kind:     by_value
      - .offset:         72
        .size:           8
        .value_kind:     by_value
      - .offset:         80
        .size:           4
        .value_kind:     by_value
      - .address_space:  global
        .offset:         88
        .size:           8
        .value_kind:     global_buffer
      - .address_space:  global
        .offset:         96
        .size:           8
        .value_kind:     global_buffer
      - .offset:         104
        .size:           8
        .value_kind:     by_value
      - .offset:         112
        .size:           4
        .value_kind:     hidden_block_count_x
      - .offset:         116
        .size:           4
        .value_kind:     hidden_block_count_y
      - .offset:         120
        .size:           4
        .value_kind:     hidden_block_count_z
      - .offset:         124
        .size:           2
        .value_kind:     hidden_group_size_x
      - .offset:         126
        .size:           2
        .value_kind:     hidden_group_size_y
      - .offset:         128
        .size:           2
        .value_kind:     hidden_group_size_z
      - .offset:         130
        .size:           2
        .value_kind:     hidden_remainder_x
      - .offset:         132
        .size:           2
        .value_kind:     hidden_remainder_y
      - .offset:         134
        .size:           2
        .value_kind:     hidden_remainder_z
      - .offset:         152
        .size:           8
        .value_kind:     hidden_global_offset_x
      - .offset:         160
        .size:           8
        .value_kind:     hidden_global_offset_y
      - .offset:         168
        .size:           8
        .value_kind:     hidden_global_offset_z
      - .offset:         176
        .size:           2
        .value_kind:     hidden_grid_dims
    .group_segment_fixed_size: 0
    .kernarg_segment_align: 8
    .kernarg_segment_size: 368
    .language:       OpenCL C
    .language_version:
      - 2
      - 0
    .max_flat_workgroup_size: 512
    .name:           _ZN9rocsolver6v33100L23stedcx_synthesis_kernelIdEEv15rocblas_erange_iiiPT_lPiS4_lS4_iliS5_S4_S3_
    .private_segment_fixed_size: 0
    .sgpr_count:     53
    .sgpr_spill_count: 0
    .symbol:         _ZN9rocsolver6v33100L23stedcx_synthesis_kernelIdEEv15rocblas_erange_iiiPT_lPiS4_lS4_iliS5_S4_S3_.kd
    .uniform_work_group_size: 1
    .uses_dynamic_stack: false
    .vgpr_count:     24
    .vgpr_spill_count: 0
    .wavefront_size: 32
  - .args:
      - .offset:         0
        .size:           4
        .value_kind:     by_value
      - .offset:         4
        .size:           4
        .value_kind:     by_value
      - .offset:         8
        .size:           4
        .value_kind:     by_value
      - .address_space:  global
        .offset:         16
        .size:           8
        .value_kind:     global_buffer
      - .offset:         24
        .size:           4
        .value_kind:     by_value
      - .offset:         28
        .size:           4
        .value_kind:     by_value
      - .offset:         32
        .size:           8
        .value_kind:     by_value
      - .address_space:  global
        .offset:         40
        .size:           8
        .value_kind:     global_buffer
      - .offset:         48
        .size:           1
        .value_kind:     by_value
      - .offset:         52
        .size:           4
        .value_kind:     by_value
      - .offset:         56
        .size:           4
        .value_kind:     by_value
      - .offset:         64
        .size:           4
        .value_kind:     hidden_block_count_x
      - .offset:         68
        .size:           4
        .value_kind:     hidden_block_count_y
      - .offset:         72
        .size:           4
        .value_kind:     hidden_block_count_z
      - .offset:         76
        .size:           2
        .value_kind:     hidden_group_size_x
      - .offset:         78
        .size:           2
        .value_kind:     hidden_group_size_y
      - .offset:         80
        .size:           2
        .value_kind:     hidden_group_size_z
      - .offset:         82
        .size:           2
        .value_kind:     hidden_remainder_x
      - .offset:         84
        .size:           2
        .value_kind:     hidden_remainder_y
      - .offset:         86
        .size:           2
        .value_kind:     hidden_remainder_z
      - .offset:         104
        .size:           8
        .value_kind:     hidden_global_offset_x
      - .offset:         112
        .size:           8
        .value_kind:     hidden_global_offset_y
      - .offset:         120
        .size:           8
        .value_kind:     hidden_global_offset_z
      - .offset:         128
        .size:           2
        .value_kind:     hidden_grid_dims
    .group_segment_fixed_size: 0
    .kernarg_segment_align: 8
    .kernarg_segment_size: 320
    .language:       OpenCL C
    .language_version:
      - 2
      - 0
    .max_flat_workgroup_size: 1024
    .name:           _ZN9rocsolver6v33100L8copy_matIdPdNS0_7no_maskEEEvNS0_17copymat_directionEiiT0_iilPT_T1_13rocblas_fill_17rocblas_diagonal_
    .private_segment_fixed_size: 0
    .sgpr_count:     20
    .sgpr_spill_count: 0
    .symbol:         _ZN9rocsolver6v33100L8copy_matIdPdNS0_7no_maskEEEvNS0_17copymat_directionEiiT0_iilPT_T1_13rocblas_fill_17rocblas_diagonal_.kd
    .uniform_work_group_size: 1
    .uses_dynamic_stack: false
    .vgpr_count:     4
    .vgpr_spill_count: 0
    .wavefront_size: 32
  - .args:
      - .offset:         0
        .size:           4
        .value_kind:     by_value
      - .address_space:  global
        .offset:         8
        .size:           8
        .value_kind:     global_buffer
      - .offset:         16
        .size:           8
        .value_kind:     by_value
      - .address_space:  global
        .offset:         24
        .size:           8
        .value_kind:     global_buffer
      - .offset:         32
        .size:           4
        .value_kind:     by_value
      - .offset:         36
        .size:           4
        .value_kind:     by_value
      - .offset:         40
        .size:           8
        .value_kind:     by_value
      - .offset:         48
        .size:           4
        .value_kind:     by_value
      - .address_space:  global
        .offset:         56
        .size:           8
        .value_kind:     global_buffer
      - .address_space:  global
        .offset:         64
        .size:           8
        .value_kind:     global_buffer
      - .offset:         72
        .size:           4
        .value_kind:     hidden_block_count_x
      - .offset:         76
        .size:           4
        .value_kind:     hidden_block_count_y
      - .offset:         80
        .size:           4
        .value_kind:     hidden_block_count_z
      - .offset:         84
        .size:           2
        .value_kind:     hidden_group_size_x
      - .offset:         86
        .size:           2
        .value_kind:     hidden_group_size_y
      - .offset:         88
        .size:           2
        .value_kind:     hidden_group_size_z
      - .offset:         90
        .size:           2
        .value_kind:     hidden_remainder_x
      - .offset:         92
        .size:           2
        .value_kind:     hidden_remainder_y
      - .offset:         94
        .size:           2
        .value_kind:     hidden_remainder_z
      - .offset:         112
        .size:           8
        .value_kind:     hidden_global_offset_x
      - .offset:         120
        .size:           8
        .value_kind:     hidden_global_offset_y
      - .offset:         128
        .size:           8
        .value_kind:     hidden_global_offset_z
      - .offset:         136
        .size:           2
        .value_kind:     hidden_grid_dims
      - .offset:         152
        .size:           8
        .value_kind:     hidden_hostcall_buffer
    .group_segment_fixed_size: 0
    .kernarg_segment_align: 8
    .kernarg_segment_size: 328
    .language:       OpenCL C
    .language_version:
      - 2
      - 0
    .max_flat_workgroup_size: 256
    .name:           _ZN9rocsolver6v33100L11stedcx_sortIddPdEEviPT0_lT1_iiliPiS6_
    .private_segment_fixed_size: 64
    .sgpr_count:     56
    .sgpr_spill_count: 0
    .symbol:         _ZN9rocsolver6v33100L11stedcx_sortIddPdEEviPT0_lT1_iiliPiS6_.kd
    .uniform_work_group_size: 1
    .uses_dynamic_stack: false
    .vgpr_count:     53
    .vgpr_spill_count: 0
    .wavefront_size: 32
  - .args:
      - .address_space:  global
        .offset:         0
        .size:           8
        .value_kind:     global_buffer
      - .offset:         8
        .size:           8
        .value_kind:     by_value
      - .offset:         16
        .size:           4
        .value_kind:     by_value
      - .offset:         20
        .size:           4
        .value_kind:     by_value
      - .offset:         24
        .size:           4
        .value_kind:     hidden_block_count_x
      - .offset:         28
        .size:           4
        .value_kind:     hidden_block_count_y
      - .offset:         32
        .size:           4
        .value_kind:     hidden_block_count_z
      - .offset:         36
        .size:           2
        .value_kind:     hidden_group_size_x
      - .offset:         38
        .size:           2
        .value_kind:     hidden_group_size_y
      - .offset:         40
        .size:           2
        .value_kind:     hidden_group_size_z
      - .offset:         42
        .size:           2
        .value_kind:     hidden_remainder_x
      - .offset:         44
        .size:           2
        .value_kind:     hidden_remainder_y
      - .offset:         46
        .size:           2
        .value_kind:     hidden_remainder_z
      - .offset:         64
        .size:           8
        .value_kind:     hidden_global_offset_x
      - .offset:         72
        .size:           8
        .value_kind:     hidden_global_offset_y
      - .offset:         80
        .size:           8
        .value_kind:     hidden_global_offset_z
      - .offset:         88
        .size:           2
        .value_kind:     hidden_grid_dims
    .group_segment_fixed_size: 0
    .kernarg_segment_align: 8
    .kernarg_segment_size: 280
    .language:       OpenCL C
    .language_version:
      - 2
      - 0
    .max_flat_workgroup_size: 1024
    .name:           _ZN9rocsolver6v33100L16reset_batch_infoI19rocblas_complex_numIfEiiPS3_EEvT2_lT0_T1_
    .private_segment_fixed_size: 0
    .sgpr_count:     14
    .sgpr_spill_count: 0
    .symbol:         _ZN9rocsolver6v33100L16reset_batch_infoI19rocblas_complex_numIfEiiPS3_EEvT2_lT0_T1_.kd
    .uniform_work_group_size: 1
    .uses_dynamic_stack: false
    .vgpr_count:     4
    .vgpr_spill_count: 0
    .wavefront_size: 32
  - .args:
      - .offset:         0
        .size:           4
        .value_kind:     by_value
      - .offset:         4
        .size:           4
        .value_kind:     by_value
      - .address_space:  global
        .offset:         8
        .size:           8
        .value_kind:     global_buffer
      - .offset:         16
        .size:           4
        .value_kind:     by_value
      - .offset:         20
        .size:           4
        .value_kind:     by_value
      - .offset:         24
        .size:           8
        .value_kind:     by_value
      - .offset:         32
        .size:           4
        .value_kind:     hidden_block_count_x
      - .offset:         36
        .size:           4
        .value_kind:     hidden_block_count_y
      - .offset:         40
        .size:           4
        .value_kind:     hidden_block_count_z
      - .offset:         44
        .size:           2
        .value_kind:     hidden_group_size_x
      - .offset:         46
        .size:           2
        .value_kind:     hidden_group_size_y
      - .offset:         48
        .size:           2
        .value_kind:     hidden_group_size_z
      - .offset:         50
        .size:           2
        .value_kind:     hidden_remainder_x
      - .offset:         52
        .size:           2
        .value_kind:     hidden_remainder_y
      - .offset:         54
        .size:           2
        .value_kind:     hidden_remainder_z
      - .offset:         72
        .size:           8
        .value_kind:     hidden_global_offset_x
      - .offset:         80
        .size:           8
        .value_kind:     hidden_global_offset_y
      - .offset:         88
        .size:           8
        .value_kind:     hidden_global_offset_z
      - .offset:         96
        .size:           2
        .value_kind:     hidden_grid_dims
    .group_segment_fixed_size: 0
    .kernarg_segment_align: 8
    .kernarg_segment_size: 288
    .language:       OpenCL C
    .language_version:
      - 2
      - 0
    .max_flat_workgroup_size: 1024
    .name:           _ZN9rocsolver6v33100L10init_identI19rocblas_complex_numIfEPS3_EEviiT0_iil
    .private_segment_fixed_size: 0
    .sgpr_count:     13
    .sgpr_spill_count: 0
    .symbol:         _ZN9rocsolver6v33100L10init_identI19rocblas_complex_numIfEPS3_EEviiT0_iil.kd
    .uniform_work_group_size: 1
    .uses_dynamic_stack: false
    .vgpr_count:     4
    .vgpr_spill_count: 0
    .wavefront_size: 32
  - .args:
      - .offset:         0
        .size:           4
        .value_kind:     by_value
      - .offset:         4
        .size:           4
        .value_kind:     by_value
      - .offset:         8
        .size:           4
        .value_kind:     by_value
      - .address_space:  global
        .offset:         16
        .size:           8
        .value_kind:     global_buffer
      - .offset:         24
        .size:           4
        .value_kind:     by_value
      - .offset:         28
        .size:           4
        .value_kind:     by_value
      - .offset:         32
        .size:           8
        .value_kind:     by_value
      - .address_space:  global
        .offset:         40
        .size:           8
        .value_kind:     global_buffer
      - .offset:         48
        .size:           4
        .value_kind:     by_value
      - .offset:         52
        .size:           4
        .value_kind:     by_value
      - .offset:         56
        .size:           4
        .value_kind:     hidden_block_count_x
      - .offset:         60
        .size:           4
        .value_kind:     hidden_block_count_y
      - .offset:         64
        .size:           4
        .value_kind:     hidden_block_count_z
      - .offset:         68
        .size:           2
        .value_kind:     hidden_group_size_x
      - .offset:         70
        .size:           2
        .value_kind:     hidden_group_size_y
      - .offset:         72
        .size:           2
        .value_kind:     hidden_group_size_z
      - .offset:         74
        .size:           2
        .value_kind:     hidden_remainder_x
      - .offset:         76
        .size:           2
        .value_kind:     hidden_remainder_y
      - .offset:         78
        .size:           2
        .value_kind:     hidden_remainder_z
      - .offset:         96
        .size:           8
        .value_kind:     hidden_global_offset_x
      - .offset:         104
        .size:           8
        .value_kind:     hidden_global_offset_y
      - .offset:         112
        .size:           8
        .value_kind:     hidden_global_offset_z
      - .offset:         120
        .size:           2
        .value_kind:     hidden_grid_dims
    .group_segment_fixed_size: 0
    .kernarg_segment_align: 8
    .kernarg_segment_size: 312
    .language:       OpenCL C
    .language_version:
      - 2
      - 0
    .max_flat_workgroup_size: 1024
    .name:           _ZN9rocsolver6v33100L8copy_matI19rocblas_complex_numIfEfLb1EPS3_TnNSt9enable_ifIX18rocblas_is_complexIT_EEiE4typeELi0EEEvNS0_17copymat_directionEiiT2_iilPT0_13rocblas_fill_17rocblas_diagonal_
    .private_segment_fixed_size: 0
    .sgpr_count:     22
    .sgpr_spill_count: 0
    .symbol:         _ZN9rocsolver6v33100L8copy_matI19rocblas_complex_numIfEfLb1EPS3_TnNSt9enable_ifIX18rocblas_is_complexIT_EEiE4typeELi0EEEvNS0_17copymat_directionEiiT2_iilPT0_13rocblas_fill_17rocblas_diagonal_.kd
    .uniform_work_group_size: 1
    .uses_dynamic_stack: false
    .vgpr_count:     6
    .vgpr_spill_count: 0
    .wavefront_size: 32
  - .args:
      - .offset:         0
        .size:           4
        .value_kind:     by_value
      - .offset:         4
        .size:           4
        .value_kind:     by_value
      - .offset:         8
        .size:           4
        .value_kind:     by_value
      - .address_space:  global
        .offset:         16
        .size:           8
        .value_kind:     global_buffer
      - .offset:         24
        .size:           4
        .value_kind:     by_value
      - .offset:         28
        .size:           4
        .value_kind:     by_value
      - .offset:         32
        .size:           8
        .value_kind:     by_value
      - .address_space:  global
        .offset:         40
        .size:           8
        .value_kind:     global_buffer
      - .offset:         48
        .size:           4
        .value_kind:     by_value
      - .offset:         52
        .size:           4
        .value_kind:     by_value
      - .offset:         56
        .size:           4
        .value_kind:     hidden_block_count_x
      - .offset:         60
        .size:           4
        .value_kind:     hidden_block_count_y
      - .offset:         64
        .size:           4
        .value_kind:     hidden_block_count_z
      - .offset:         68
        .size:           2
        .value_kind:     hidden_group_size_x
      - .offset:         70
        .size:           2
        .value_kind:     hidden_group_size_y
      - .offset:         72
        .size:           2
        .value_kind:     hidden_group_size_z
      - .offset:         74
        .size:           2
        .value_kind:     hidden_remainder_x
      - .offset:         76
        .size:           2
        .value_kind:     hidden_remainder_y
      - .offset:         78
        .size:           2
        .value_kind:     hidden_remainder_z
      - .offset:         96
        .size:           8
        .value_kind:     hidden_global_offset_x
      - .offset:         104
        .size:           8
        .value_kind:     hidden_global_offset_y
      - .offset:         112
        .size:           8
        .value_kind:     hidden_global_offset_z
      - .offset:         120
        .size:           2
        .value_kind:     hidden_grid_dims
    .group_segment_fixed_size: 0
    .kernarg_segment_align: 8
    .kernarg_segment_size: 312
    .language:       OpenCL C
    .language_version:
      - 2
      - 0
    .max_flat_workgroup_size: 1024
    .name:           _ZN9rocsolver6v33100L8copy_matI19rocblas_complex_numIfEfLb0EPS3_TnNSt9enable_ifIX18rocblas_is_complexIT_EEiE4typeELi0EEEvNS0_17copymat_directionEiiT2_iilPT0_13rocblas_fill_17rocblas_diagonal_
    .private_segment_fixed_size: 0
    .sgpr_count:     22
    .sgpr_spill_count: 0
    .symbol:         _ZN9rocsolver6v33100L8copy_matI19rocblas_complex_numIfEfLb0EPS3_TnNSt9enable_ifIX18rocblas_is_complexIT_EEiE4typeELi0EEEvNS0_17copymat_directionEiiT2_iilPT0_13rocblas_fill_17rocblas_diagonal_.kd
    .uniform_work_group_size: 1
    .uses_dynamic_stack: false
    .vgpr_count:     6
    .vgpr_spill_count: 0
    .wavefront_size: 32
  - .args:
      - .offset:         0
        .size:           4
        .value_kind:     by_value
      - .address_space:  global
        .offset:         8
        .size:           8
        .value_kind:     global_buffer
      - .offset:         16
        .size:           8
        .value_kind:     by_value
      - .address_space:  global
        .offset:         24
        .size:           8
        .value_kind:     global_buffer
      - .offset:         32
        .size:           4
        .value_kind:     by_value
      - .offset:         36
        .size:           4
        .value_kind:     by_value
      - .offset:         40
        .size:           8
        .value_kind:     by_value
      - .offset:         48
        .size:           4
        .value_kind:     by_value
      - .address_space:  global
        .offset:         56
        .size:           8
        .value_kind:     global_buffer
      - .address_space:  global
        .offset:         64
        .size:           8
        .value_kind:     global_buffer
      - .offset:         72
        .size:           4
        .value_kind:     hidden_block_count_x
      - .offset:         76
        .size:           4
        .value_kind:     hidden_block_count_y
      - .offset:         80
        .size:           4
        .value_kind:     hidden_block_count_z
      - .offset:         84
        .size:           2
        .value_kind:     hidden_group_size_x
      - .offset:         86
        .size:           2
        .value_kind:     hidden_group_size_y
      - .offset:         88
        .size:           2
        .value_kind:     hidden_group_size_z
      - .offset:         90
        .size:           2
        .value_kind:     hidden_remainder_x
      - .offset:         92
        .size:           2
        .value_kind:     hidden_remainder_y
      - .offset:         94
        .size:           2
        .value_kind:     hidden_remainder_z
      - .offset:         112
        .size:           8
        .value_kind:     hidden_global_offset_x
      - .offset:         120
        .size:           8
        .value_kind:     hidden_global_offset_y
      - .offset:         128
        .size:           8
        .value_kind:     hidden_global_offset_z
      - .offset:         136
        .size:           2
        .value_kind:     hidden_grid_dims
      - .offset:         152
        .size:           8
        .value_kind:     hidden_hostcall_buffer
    .group_segment_fixed_size: 0
    .kernarg_segment_align: 8
    .kernarg_segment_size: 328
    .language:       OpenCL C
    .language_version:
      - 2
      - 0
    .max_flat_workgroup_size: 256
    .name:           _ZN9rocsolver6v33100L11stedcx_sortI19rocblas_complex_numIfEfPS3_EEviPT0_lT1_iiliPiS8_
    .private_segment_fixed_size: 64
    .sgpr_count:     56
    .sgpr_spill_count: 0
    .symbol:         _ZN9rocsolver6v33100L11stedcx_sortI19rocblas_complex_numIfEfPS3_EEviPT0_lT1_iiliPiS8_.kd
    .uniform_work_group_size: 1
    .uses_dynamic_stack: false
    .vgpr_count:     53
    .vgpr_spill_count: 0
    .wavefront_size: 32
  - .args:
      - .address_space:  global
        .offset:         0
        .size:           8
        .value_kind:     global_buffer
      - .offset:         8
        .size:           8
        .value_kind:     by_value
      - .offset:         16
        .size:           4
        .value_kind:     by_value
      - .offset:         20
        .size:           4
        .value_kind:     by_value
      - .offset:         24
        .size:           4
        .value_kind:     hidden_block_count_x
      - .offset:         28
        .size:           4
        .value_kind:     hidden_block_count_y
      - .offset:         32
        .size:           4
        .value_kind:     hidden_block_count_z
      - .offset:         36
        .size:           2
        .value_kind:     hidden_group_size_x
      - .offset:         38
        .size:           2
        .value_kind:     hidden_group_size_y
      - .offset:         40
        .size:           2
        .value_kind:     hidden_group_size_z
      - .offset:         42
        .size:           2
        .value_kind:     hidden_remainder_x
      - .offset:         44
        .size:           2
        .value_kind:     hidden_remainder_y
      - .offset:         46
        .size:           2
        .value_kind:     hidden_remainder_z
      - .offset:         64
        .size:           8
        .value_kind:     hidden_global_offset_x
      - .offset:         72
        .size:           8
        .value_kind:     hidden_global_offset_y
      - .offset:         80
        .size:           8
        .value_kind:     hidden_global_offset_z
      - .offset:         88
        .size:           2
        .value_kind:     hidden_grid_dims
    .group_segment_fixed_size: 0
    .kernarg_segment_align: 8
    .kernarg_segment_size: 280
    .language:       OpenCL C
    .language_version:
      - 2
      - 0
    .max_flat_workgroup_size: 1024
    .name:           _ZN9rocsolver6v33100L16reset_batch_infoI19rocblas_complex_numIdEiiPS3_EEvT2_lT0_T1_
    .private_segment_fixed_size: 0
    .sgpr_count:     10
    .sgpr_spill_count: 0
    .symbol:         _ZN9rocsolver6v33100L16reset_batch_infoI19rocblas_complex_numIdEiiPS3_EEvT2_lT0_T1_.kd
    .uniform_work_group_size: 1
    .uses_dynamic_stack: false
    .vgpr_count:     6
    .vgpr_spill_count: 0
    .wavefront_size: 32
  - .args:
      - .offset:         0
        .size:           4
        .value_kind:     by_value
      - .offset:         4
        .size:           4
        .value_kind:     by_value
      - .address_space:  global
        .offset:         8
        .size:           8
        .value_kind:     global_buffer
      - .offset:         16
        .size:           4
        .value_kind:     by_value
      - .offset:         20
        .size:           4
        .value_kind:     by_value
      - .offset:         24
        .size:           8
        .value_kind:     by_value
      - .offset:         32
        .size:           4
        .value_kind:     hidden_block_count_x
      - .offset:         36
        .size:           4
        .value_kind:     hidden_block_count_y
      - .offset:         40
        .size:           4
        .value_kind:     hidden_block_count_z
      - .offset:         44
        .size:           2
        .value_kind:     hidden_group_size_x
      - .offset:         46
        .size:           2
        .value_kind:     hidden_group_size_y
      - .offset:         48
        .size:           2
        .value_kind:     hidden_group_size_z
      - .offset:         50
        .size:           2
        .value_kind:     hidden_remainder_x
      - .offset:         52
        .size:           2
        .value_kind:     hidden_remainder_y
      - .offset:         54
        .size:           2
        .value_kind:     hidden_remainder_z
      - .offset:         72
        .size:           8
        .value_kind:     hidden_global_offset_x
      - .offset:         80
        .size:           8
        .value_kind:     hidden_global_offset_y
      - .offset:         88
        .size:           8
        .value_kind:     hidden_global_offset_z
      - .offset:         96
        .size:           2
        .value_kind:     hidden_grid_dims
    .group_segment_fixed_size: 0
    .kernarg_segment_align: 8
    .kernarg_segment_size: 288
    .language:       OpenCL C
    .language_version:
      - 2
      - 0
    .max_flat_workgroup_size: 1024
    .name:           _ZN9rocsolver6v33100L10init_identI19rocblas_complex_numIdEPS3_EEviiT0_iil
    .private_segment_fixed_size: 0
    .sgpr_count:     13
    .sgpr_spill_count: 0
    .symbol:         _ZN9rocsolver6v33100L10init_identI19rocblas_complex_numIdEPS3_EEviiT0_iil.kd
    .uniform_work_group_size: 1
    .uses_dynamic_stack: false
    .vgpr_count:     5
    .vgpr_spill_count: 0
    .wavefront_size: 32
  - .args:
      - .offset:         0
        .size:           4
        .value_kind:     by_value
      - .offset:         4
        .size:           4
        .value_kind:     by_value
      - .offset:         8
        .size:           4
        .value_kind:     by_value
      - .address_space:  global
        .offset:         16
        .size:           8
        .value_kind:     global_buffer
      - .offset:         24
        .size:           4
        .value_kind:     by_value
      - .offset:         28
        .size:           4
        .value_kind:     by_value
      - .offset:         32
        .size:           8
        .value_kind:     by_value
      - .address_space:  global
        .offset:         40
        .size:           8
        .value_kind:     global_buffer
      - .offset:         48
        .size:           4
        .value_kind:     by_value
      - .offset:         52
        .size:           4
        .value_kind:     by_value
      - .offset:         56
        .size:           4
        .value_kind:     hidden_block_count_x
      - .offset:         60
        .size:           4
        .value_kind:     hidden_block_count_y
      - .offset:         64
        .size:           4
        .value_kind:     hidden_block_count_z
      - .offset:         68
        .size:           2
        .value_kind:     hidden_group_size_x
      - .offset:         70
        .size:           2
        .value_kind:     hidden_group_size_y
      - .offset:         72
        .size:           2
        .value_kind:     hidden_group_size_z
      - .offset:         74
        .size:           2
        .value_kind:     hidden_remainder_x
      - .offset:         76
        .size:           2
        .value_kind:     hidden_remainder_y
      - .offset:         78
        .size:           2
        .value_kind:     hidden_remainder_z
      - .offset:         96
        .size:           8
        .value_kind:     hidden_global_offset_x
      - .offset:         104
        .size:           8
        .value_kind:     hidden_global_offset_y
      - .offset:         112
        .size:           8
        .value_kind:     hidden_global_offset_z
      - .offset:         120
        .size:           2
        .value_kind:     hidden_grid_dims
    .group_segment_fixed_size: 0
    .kernarg_segment_align: 8
    .kernarg_segment_size: 312
    .language:       OpenCL C
    .language_version:
      - 2
      - 0
    .max_flat_workgroup_size: 1024
    .name:           _ZN9rocsolver6v33100L8copy_matI19rocblas_complex_numIdEdLb1EPS3_TnNSt9enable_ifIX18rocblas_is_complexIT_EEiE4typeELi0EEEvNS0_17copymat_directionEiiT2_iilPT0_13rocblas_fill_17rocblas_diagonal_
    .private_segment_fixed_size: 0
    .sgpr_count:     22
    .sgpr_spill_count: 0
    .symbol:         _ZN9rocsolver6v33100L8copy_matI19rocblas_complex_numIdEdLb1EPS3_TnNSt9enable_ifIX18rocblas_is_complexIT_EEiE4typeELi0EEEvNS0_17copymat_directionEiiT2_iilPT0_13rocblas_fill_17rocblas_diagonal_.kd
    .uniform_work_group_size: 1
    .uses_dynamic_stack: false
    .vgpr_count:     8
    .vgpr_spill_count: 0
    .wavefront_size: 32
  - .args:
      - .offset:         0
        .size:           4
        .value_kind:     by_value
      - .offset:         4
        .size:           4
        .value_kind:     by_value
      - .offset:         8
        .size:           4
        .value_kind:     by_value
      - .address_space:  global
        .offset:         16
        .size:           8
        .value_kind:     global_buffer
      - .offset:         24
        .size:           4
        .value_kind:     by_value
      - .offset:         28
        .size:           4
        .value_kind:     by_value
      - .offset:         32
        .size:           8
        .value_kind:     by_value
      - .address_space:  global
        .offset:         40
        .size:           8
        .value_kind:     global_buffer
      - .offset:         48
        .size:           4
        .value_kind:     by_value
      - .offset:         52
        .size:           4
        .value_kind:     by_value
      - .offset:         56
        .size:           4
        .value_kind:     hidden_block_count_x
      - .offset:         60
        .size:           4
        .value_kind:     hidden_block_count_y
      - .offset:         64
        .size:           4
        .value_kind:     hidden_block_count_z
      - .offset:         68
        .size:           2
        .value_kind:     hidden_group_size_x
      - .offset:         70
        .size:           2
        .value_kind:     hidden_group_size_y
      - .offset:         72
        .size:           2
        .value_kind:     hidden_group_size_z
      - .offset:         74
        .size:           2
        .value_kind:     hidden_remainder_x
      - .offset:         76
        .size:           2
        .value_kind:     hidden_remainder_y
      - .offset:         78
        .size:           2
        .value_kind:     hidden_remainder_z
      - .offset:         96
        .size:           8
        .value_kind:     hidden_global_offset_x
      - .offset:         104
        .size:           8
        .value_kind:     hidden_global_offset_y
      - .offset:         112
        .size:           8
        .value_kind:     hidden_global_offset_z
      - .offset:         120
        .size:           2
        .value_kind:     hidden_grid_dims
    .group_segment_fixed_size: 0
    .kernarg_segment_align: 8
    .kernarg_segment_size: 312
    .language:       OpenCL C
    .language_version:
      - 2
      - 0
    .max_flat_workgroup_size: 1024
    .name:           _ZN9rocsolver6v33100L8copy_matI19rocblas_complex_numIdEdLb0EPS3_TnNSt9enable_ifIX18rocblas_is_complexIT_EEiE4typeELi0EEEvNS0_17copymat_directionEiiT2_iilPT0_13rocblas_fill_17rocblas_diagonal_
    .private_segment_fixed_size: 0
    .sgpr_count:     22
    .sgpr_spill_count: 0
    .symbol:         _ZN9rocsolver6v33100L8copy_matI19rocblas_complex_numIdEdLb0EPS3_TnNSt9enable_ifIX18rocblas_is_complexIT_EEiE4typeELi0EEEvNS0_17copymat_directionEiiT2_iilPT0_13rocblas_fill_17rocblas_diagonal_.kd
    .uniform_work_group_size: 1
    .uses_dynamic_stack: false
    .vgpr_count:     6
    .vgpr_spill_count: 0
    .wavefront_size: 32
  - .args:
      - .offset:         0
        .size:           4
        .value_kind:     by_value
      - .address_space:  global
        .offset:         8
        .size:           8
        .value_kind:     global_buffer
      - .offset:         16
        .size:           8
        .value_kind:     by_value
      - .address_space:  global
        .offset:         24
        .size:           8
        .value_kind:     global_buffer
      - .offset:         32
        .size:           4
        .value_kind:     by_value
      - .offset:         36
        .size:           4
        .value_kind:     by_value
      - .offset:         40
        .size:           8
        .value_kind:     by_value
      - .offset:         48
        .size:           4
        .value_kind:     by_value
      - .address_space:  global
        .offset:         56
        .size:           8
        .value_kind:     global_buffer
      - .address_space:  global
        .offset:         64
        .size:           8
        .value_kind:     global_buffer
      - .offset:         72
        .size:           4
        .value_kind:     hidden_block_count_x
      - .offset:         76
        .size:           4
        .value_kind:     hidden_block_count_y
      - .offset:         80
        .size:           4
        .value_kind:     hidden_block_count_z
      - .offset:         84
        .size:           2
        .value_kind:     hidden_group_size_x
      - .offset:         86
        .size:           2
        .value_kind:     hidden_group_size_y
      - .offset:         88
        .size:           2
        .value_kind:     hidden_group_size_z
      - .offset:         90
        .size:           2
        .value_kind:     hidden_remainder_x
      - .offset:         92
        .size:           2
        .value_kind:     hidden_remainder_y
      - .offset:         94
        .size:           2
        .value_kind:     hidden_remainder_z
      - .offset:         112
        .size:           8
        .value_kind:     hidden_global_offset_x
      - .offset:         120
        .size:           8
        .value_kind:     hidden_global_offset_y
      - .offset:         128
        .size:           8
        .value_kind:     hidden_global_offset_z
      - .offset:         136
        .size:           2
        .value_kind:     hidden_grid_dims
      - .offset:         152
        .size:           8
        .value_kind:     hidden_hostcall_buffer
    .group_segment_fixed_size: 4096
    .kernarg_segment_align: 8
    .kernarg_segment_size: 328
    .language:       OpenCL C
    .language_version:
      - 2
      - 0
    .max_flat_workgroup_size: 256
    .name:           _ZN9rocsolver6v33100L11stedcx_sortI19rocblas_complex_numIdEdPS3_EEviPT0_lT1_iiliPiS8_
    .private_segment_fixed_size: 64
    .sgpr_count:     56
    .sgpr_spill_count: 0
    .symbol:         _ZN9rocsolver6v33100L11stedcx_sortI19rocblas_complex_numIdEdPS3_EEviPT0_lT1_iiliPiS8_.kd
    .uniform_work_group_size: 1
    .uses_dynamic_stack: false
    .vgpr_count:     53
    .vgpr_spill_count: 0
    .wavefront_size: 32
amdhsa.target:   amdgcn-amd-amdhsa--gfx1250
amdhsa.version:
  - 1
  - 2
...

	.end_amdgpu_metadata
